;; amdgpu-corpus repo=ROCm/rocFFT kind=compiled arch=gfx950 opt=O3
	.text
	.amdgcn_target "amdgcn-amd-amdhsa--gfx950"
	.amdhsa_code_object_version 6
	.protected	bluestein_single_fwd_len884_dim1_sp_op_CI_CI ; -- Begin function bluestein_single_fwd_len884_dim1_sp_op_CI_CI
	.globl	bluestein_single_fwd_len884_dim1_sp_op_CI_CI
	.p2align	8
	.type	bluestein_single_fwd_len884_dim1_sp_op_CI_CI,@function
bluestein_single_fwd_len884_dim1_sp_op_CI_CI: ; @bluestein_single_fwd_len884_dim1_sp_op_CI_CI
; %bb.0:
	s_load_dwordx4 s[16:19], s[0:1], 0x28
	v_mul_u32_u24_e32 v1, 0x3c4, v0
	v_lshrrev_b32_e32 v2, 16, v1
	v_mad_u64_u32 v[42:43], s[2:3], s2, 3, v[2:3]
	v_mov_b32_e32 v43, 0
	s_waitcnt lgkmcnt(0)
	v_cmp_gt_u64_e32 vcc, s[16:17], v[42:43]
	s_and_saveexec_b64 s[2:3], vcc
	s_cbranch_execz .LBB0_24
; %bb.1:
	s_load_dwordx4 s[4:7], s[0:1], 0x18
	s_load_dwordx4 s[12:15], s[0:1], 0x0
	v_mul_lo_u16_e32 v1, 0x44, v2
	v_sub_u16_e32 v170, v0, v1
	v_mov_b32_e32 v4, s18
	s_waitcnt lgkmcnt(0)
	s_load_dwordx4 s[8:11], s[4:5], 0x0
	v_mov_b32_e32 v5, s19
	v_mov_b32_e32 v28, 0x220
	v_lshlrev_b32_e32 v68, 3, v170
	global_load_dwordx2 v[56:57], v68, s[12:13]
	s_waitcnt lgkmcnt(0)
	v_mad_u64_u32 v[0:1], s[2:3], s10, v42, 0
	v_mov_b32_e32 v2, v1
	v_mad_u64_u32 v[2:3], s[2:3], s11, v42, v[2:3]
	v_mov_b32_e32 v1, v2
	v_mad_u64_u32 v[2:3], s[2:3], s8, v170, 0
	v_mov_b32_e32 v6, v3
	v_mad_u64_u32 v[6:7], s[2:3], s9, v170, v[6:7]
	v_mov_b32_e32 v3, v6
	v_lshl_add_u64 v[0:1], v[0:1], 3, v[4:5]
	v_lshl_add_u64 v[0:1], v[2:3], 3, v[0:1]
	global_load_dwordx2 v[2:3], v[0:1], off
	v_mad_u64_u32 v[0:1], s[2:3], s8, v28, v[0:1]
	s_mul_i32 s4, s9, 0x220
	v_add_u32_e32 v1, s4, v1
	v_mad_u64_u32 v[6:7], s[2:3], s8, v28, v[0:1]
	v_add_u32_e32 v7, s4, v7
	v_mad_u64_u32 v[8:9], s[2:3], s8, v28, v[6:7]
	v_add_u32_e32 v9, s4, v9
	global_load_dwordx2 v[54:55], v68, s[12:13] offset:544
	global_load_dwordx2 v[50:51], v68, s[12:13] offset:1088
	;; [unrolled: 1-line block ×3, first 2 shown]
	global_load_dwordx2 v[10:11], v[0:1], off
	v_mad_u64_u32 v[0:1], s[2:3], s8, v28, v[8:9]
	v_add_u32_e32 v1, s4, v1
	global_load_dwordx2 v[12:13], v[6:7], off
	global_load_dwordx2 v[14:15], v[8:9], off
	;; [unrolled: 1-line block ×3, first 2 shown]
	v_mad_u64_u32 v[0:1], s[2:3], s8, v28, v[0:1]
	v_add_u32_e32 v1, s4, v1
	global_load_dwordx2 v[6:7], v[0:1], off
	v_mad_u64_u32 v[0:1], s[2:3], s8, v28, v[0:1]
	v_add_u32_e32 v1, s4, v1
	global_load_dwordx2 v[52:53], v68, s[12:13] offset:2176
	global_load_dwordx2 v[8:9], v[0:1], off
	v_mad_u64_u32 v[0:1], s[2:3], s8, v28, v[0:1]
	v_add_u32_e32 v1, s4, v1
	v_mov_b32_e32 v69, v43
	global_load_dwordx2 v[48:49], v68, s[12:13] offset:2720
	global_load_dwordx2 v[18:19], v[0:1], off
	global_load_dwordx2 v[46:47], v68, s[12:13] offset:3264
	global_load_dwordx2 v[38:39], v68, s[12:13] offset:3808
	v_mad_u64_u32 v[0:1], s[2:3], s8, v28, v[0:1]
	v_lshl_add_u64 v[4:5], s[12:13], 0, v[68:69]
	v_add_u32_e32 v1, s4, v1
	s_movk_i32 s2, 0x1000
	global_load_dwordx2 v[20:21], v[0:1], off
	v_add_co_u32_e32 v4, vcc, s2, v4
	v_mad_u64_u32 v[0:1], s[2:3], s8, v28, v[0:1]
	s_nop 0
	v_addc_co_u32_e32 v5, vcc, 0, v5, vcc
	v_add_u32_e32 v1, s4, v1
	global_load_dwordx2 v[40:41], v[4:5], off offset:256
	global_load_dwordx2 v[22:23], v[0:1], off
	global_load_dwordx2 v[36:37], v[4:5], off offset:800
	v_mad_u64_u32 v[0:1], s[2:3], s8, v28, v[0:1]
	v_add_u32_e32 v1, s4, v1
	global_load_dwordx2 v[24:25], v[0:1], off
	global_load_dwordx2 v[34:35], v[4:5], off offset:1344
	v_mad_u64_u32 v[0:1], s[2:3], s8, v28, v[0:1]
	v_add_u32_e32 v1, s4, v1
	;; [unrolled: 4-line block ×3, first 2 shown]
	global_load_dwordx2 v[28:29], v[0:1], off
	global_load_dwordx2 v[30:31], v[4:5], off offset:2432
	s_mov_b32 s2, 0xaaaaaaab
	v_mul_hi_u32 v0, v42, s2
	v_lshrrev_b32_e32 v0, 1, v0
	v_lshl_add_u32 v0, v0, 1, v0
	v_sub_u32_e32 v0, v42, v0
	v_mul_u32_u24_e32 v1, 0x374, v0
	v_accvgpr_write_b32 a12, v42
	v_lshlrev_b32_e32 v42, 3, v1
	v_add_u32_e32 v112, v68, v42
	v_add_u32_e32 v69, 0x800, v112
	v_add_u32_e32 v78, 0x1000, v112
	s_load_dwordx4 s[8:11], s[6:7], 0x0
	s_mov_b32 s2, 0xbeedf032
	s_mov_b32 s6, 0x3f62ad3f
	;; [unrolled: 1-line block ×11, first 2 shown]
	s_waitcnt vmcnt(24)
	v_mul_f32_e32 v0, v3, v57
	v_mul_f32_e32 v1, v2, v57
	v_fmac_f32_e32 v0, v2, v56
	v_fma_f32 v1, v3, v56, -v1
	s_mov_b32 s38, 0x3f29c268
	s_mov_b32 s30, 0x3f7e222b
	v_accvgpr_write_b32 a13, v42
	s_mov_b32 s36, 0x3eedf032
	s_waitcnt vmcnt(23)
	v_accvgpr_write_b32 a24, v54
	s_waitcnt vmcnt(22)
	v_accvgpr_write_b32 a20, v50
	v_accvgpr_write_b32 a21, v51
	s_waitcnt vmcnt(20)
	v_mul_f32_e32 v2, v11, v55
	v_mul_f32_e32 v3, v10, v55
	v_fmac_f32_e32 v2, v10, v54
	v_fma_f32 v3, v11, v54, -v3
	ds_write2_b64 v112, v[0:1], v[2:3] offset1:68
	s_waitcnt vmcnt(19)
	v_mul_f32_e32 v0, v13, v51
	v_mul_f32_e32 v1, v12, v51
	s_waitcnt vmcnt(18)
	v_mul_f32_e32 v2, v15, v45
	v_mul_f32_e32 v3, v14, v45
	v_fmac_f32_e32 v0, v12, v50
	v_fma_f32 v1, v13, v50, -v1
	v_fmac_f32_e32 v2, v14, v44
	v_fma_f32 v3, v15, v44, -v3
	ds_write2_b64 v112, v[0:1], v[2:3] offset0:136 offset1:204
	s_waitcnt vmcnt(15)
	v_mul_f32_e32 v0, v17, v53
	v_mul_f32_e32 v1, v16, v53
	v_fmac_f32_e32 v0, v16, v52
	s_waitcnt vmcnt(13)
	v_mul_f32_e32 v2, v7, v49
	v_mul_f32_e32 v3, v6, v49
	v_fma_f32 v1, v17, v52, -v1
	v_fmac_f32_e32 v2, v6, v48
	v_fma_f32 v3, v7, v48, -v3
	ds_write2_b64 v69, v[0:1], v[2:3] offset0:16 offset1:84
	s_waitcnt vmcnt(11)
	v_mul_f32_e32 v0, v9, v47
	v_mul_f32_e32 v1, v8, v47
	s_waitcnt vmcnt(10)
	v_mul_f32_e32 v2, v19, v39
	v_mul_f32_e32 v3, v18, v39
	v_fmac_f32_e32 v0, v8, v46
	v_fma_f32 v1, v9, v46, -v1
	v_fmac_f32_e32 v2, v18, v38
	v_fma_f32 v3, v19, v38, -v3
	ds_write2_b64 v69, v[0:1], v[2:3] offset0:152 offset1:220
	s_waitcnt vmcnt(8)
	v_mul_f32_e32 v0, v21, v41
	v_mul_f32_e32 v1, v20, v41
	s_waitcnt vmcnt(6)
	v_mul_f32_e32 v2, v23, v37
	v_mul_f32_e32 v3, v22, v37
	v_fmac_f32_e32 v0, v20, v40
	v_fma_f32 v1, v21, v40, -v1
	v_fmac_f32_e32 v2, v22, v36
	v_fma_f32 v3, v23, v36, -v3
	ds_write2_b64 v78, v[0:1], v[2:3] offset0:32 offset1:100
	s_waitcnt vmcnt(4)
	v_mul_f32_e32 v0, v25, v35
	v_mul_f32_e32 v1, v24, v35
	s_waitcnt vmcnt(2)
	v_mul_f32_e32 v2, v27, v33
	v_mul_f32_e32 v3, v26, v33
	v_fmac_f32_e32 v0, v24, v34
	v_fma_f32 v1, v25, v34, -v1
	v_fmac_f32_e32 v2, v26, v32
	v_fma_f32 v3, v27, v32, -v3
	ds_write2_b64 v78, v[0:1], v[2:3] offset0:168 offset1:236
	s_waitcnt vmcnt(0)
	v_mul_f32_e32 v0, v29, v31
	v_mul_f32_e32 v1, v28, v31
	v_fmac_f32_e32 v0, v28, v30
	v_fma_f32 v1, v29, v30, -v1
	ds_write_b64 v112, v[0:1] offset:6528
	s_waitcnt lgkmcnt(0)
	s_barrier
	ds_read2_b64 v[0:3], v112 offset1:68
	ds_read2_b64 v[4:7], v69 offset0:16 offset1:84
	ds_read2_b64 v[8:11], v78 offset0:32 offset1:100
	;; [unrolled: 1-line block ×5, first 2 shown]
	s_waitcnt lgkmcnt(5)
	v_pk_add_f32 v[16:17], v[0:1], v[2:3]
	v_accvgpr_write_b32 a18, v48
	s_waitcnt lgkmcnt(2)
	v_pk_add_f32 v[16:17], v[16:17], v[12:13]
	v_accvgpr_write_b32 a0, v30
	v_pk_add_f32 v[16:17], v[16:17], v[14:15]
	v_pk_add_f32 v[18:19], v[10:11], v[4:5]
	v_pk_add_f32 v[24:25], v[4:5], v[10:11] neg_lo:[0,1] neg_hi:[0,1]
	v_pk_add_f32 v[4:5], v[16:17], v[4:5]
	v_accvgpr_write_b32 a19, v49
	v_accvgpr_write_b32 a1, v31
	v_pk_add_f32 v[30:31], v[8:9], v[6:7]
	v_pk_add_f32 v[4:5], v[4:5], v[6:7]
	v_pk_add_f32 v[48:49], v[6:7], v[8:9] neg_lo:[0,1] neg_hi:[0,1]
	ds_read_b64 v[6:7], v112 offset:6528
	s_waitcnt lgkmcnt(2)
	v_pk_add_f32 v[4:5], v[4:5], v[20:21]
	v_accvgpr_write_b32 a22, v52
	v_pk_add_f32 v[4:5], v[4:5], v[22:23]
	s_waitcnt lgkmcnt(1)
	v_pk_add_f32 v[76:77], v[12:13], v[28:29] neg_lo:[0,1] neg_hi:[0,1]
	v_pk_add_f32 v[4:5], v[4:5], v[8:9]
	s_waitcnt lgkmcnt(0)
	v_pk_add_f32 v[82:83], v[2:3], v[6:7] neg_lo:[0,1] neg_hi:[0,1]
	v_pk_add_f32 v[4:5], v[4:5], v[10:11]
	v_pk_add_f32 v[80:81], v[6:7], v[2:3]
	;; [unrolled: 1-line block ×3, first 2 shown]
	v_pk_mul_f32 v[2:3], v[82:83], s[2:3] op_sel_hi:[1,0]
	v_pk_add_f32 v[4:5], v[4:5], v[28:29]
	v_accvgpr_write_b32 a23, v53
	v_pk_add_f32 v[58:59], v[28:29], v[12:13]
	v_pk_add_f32 v[50:51], v[22:23], v[20:21]
	v_pk_add_f32 v[52:53], v[20:21], v[22:23] neg_lo:[0,1] neg_hi:[0,1]
	v_pk_add_f32 v[20:21], v[4:5], v[6:7]
	v_pk_fma_f32 v[6:7], v[80:81], s[6:7], v[2:3] op_sel:[0,0,1] op_sel_hi:[1,0,0]
	v_pk_fma_f32 v[8:9], v[80:81], s[6:7], v[2:3] op_sel:[0,0,1] op_sel_hi:[1,0,0] neg_lo:[0,0,1] neg_hi:[0,0,1]
	s_mov_b32 s2, 0x3f116cb1
	v_pk_mul_f32 v[4:5], v[76:77], s[24:25] op_sel_hi:[1,0]
	v_pk_add_f32 v[70:71], v[14:15], v[26:27] neg_lo:[0,1] neg_hi:[0,1]
	v_pk_fma_f32 v[2:3], v[58:59], s[2:3], v[4:5] op_sel:[0,0,1] op_sel_hi:[1,0,0]
	v_pk_fma_f32 v[10:11], v[58:59], s[2:3], v[4:5] op_sel:[0,0,1] op_sel_hi:[1,0,0] neg_lo:[0,0,1] neg_hi:[0,0,1]
	v_mov_b32_e32 v5, v9
	v_mov_b32_e32 v9, v7
	v_pk_add_f32 v[60:61], v[26:27], v[14:15]
	v_pk_add_f32 v[8:9], v[0:1], v[8:9]
	v_mov_b32_e32 v7, v11
	v_mov_b32_e32 v11, v3
	v_pk_mul_f32 v[12:13], v[70:71], s[34:35] op_sel_hi:[1,0]
	v_pk_add_f32 v[10:11], v[10:11], v[8:9]
	v_pk_fma_f32 v[8:9], v[60:61], s[4:5], v[12:13] op_sel:[0,0,1] op_sel_hi:[1,0,0]
	v_pk_fma_f32 v[12:13], v[60:61], s[4:5], v[12:13] op_sel:[0,0,1] op_sel_hi:[1,0,0] neg_lo:[0,0,1] neg_hi:[0,0,1]
	v_pk_mul_f32 v[14:15], v[24:25], s[18:19] op_sel_hi:[1,0]
	v_mov_b32_e32 v3, v13
	v_mov_b32_e32 v13, v9
	v_pk_add_f32 v[12:13], v[12:13], v[10:11]
	v_pk_fma_f32 v[10:11], v[18:19], s[16:17], v[14:15] op_sel:[0,0,1] op_sel_hi:[1,0,0]
	v_pk_fma_f32 v[14:15], v[18:19], s[16:17], v[14:15] op_sel:[0,0,1] op_sel_hi:[1,0,0] neg_lo:[0,0,1] neg_hi:[0,0,1]
	v_pk_mul_f32 v[26:27], v[52:53], s[28:29] op_sel_hi:[1,0]
	v_mov_b32_e32 v9, v15
	v_mov_b32_e32 v15, v11
	v_pk_add_f32 v[16:17], v[14:15], v[12:13]
	v_pk_mul_f32 v[14:15], v[48:49], s[22:23] op_sel_hi:[1,0]
	v_mul_lo_u16_e32 v4, 13, v170
	v_pk_fma_f32 v[12:13], v[30:31], s[20:21], v[14:15] op_sel:[0,0,1] op_sel_hi:[1,0,0]
	v_pk_fma_f32 v[22:23], v[30:31], s[20:21], v[14:15] op_sel:[0,0,1] op_sel_hi:[1,0,0] neg_lo:[0,0,1] neg_hi:[0,0,1]
	v_lshl_add_u32 v113, v4, 3, v42
	v_mov_b32_e32 v15, v23
	v_mov_b32_e32 v23, v13
	v_pk_add_f32 v[22:23], v[22:23], v[16:17]
	v_pk_fma_f32 v[16:17], v[50:51], s[26:27], v[26:27] op_sel:[0,0,1] op_sel_hi:[1,0,0]
	v_pk_fma_f32 v[26:27], v[50:51], s[26:27], v[26:27] op_sel:[0,0,1] op_sel_hi:[1,0,0] neg_lo:[0,0,1] neg_hi:[0,0,1]
	v_accvgpr_write_b32 a14, v44
	v_mov_b32_e32 v11, v27
	v_mov_b32_e32 v27, v17
	v_pk_add_f32 v[22:23], v[26:27], v[22:23]
	v_accvgpr_write_b32 a16, v46
	s_barrier
	ds_write2_b64 v113, v[20:21], v[22:23] offset1:1
	v_pk_mul_f32 v[20:21], v[82:83], s[24:25] op_sel_hi:[1,0]
	v_accvgpr_write_b32 a15, v45
	v_accvgpr_write_b32 a17, v47
	v_pk_fma_f32 v[46:47], v[80:81], s[2:3], v[20:21] op_sel:[0,0,1] op_sel_hi:[1,0,0] neg_lo:[0,0,1] neg_hi:[0,0,1]
	v_pk_fma_f32 v[44:45], v[80:81], s[2:3], v[20:21] op_sel:[0,0,1] op_sel_hi:[1,0,0]
	v_mov_b32_e32 v20, v46
	v_mov_b32_e32 v21, v45
	v_pk_mul_f32 v[22:23], v[76:77], s[18:19] op_sel_hi:[1,0]
	v_pk_add_f32 v[26:27], v[0:1], v[20:21]
	v_pk_fma_f32 v[20:21], v[58:59], s[16:17], v[22:23] op_sel:[0,0,1] op_sel_hi:[1,0,0] neg_lo:[0,0,1] neg_hi:[0,0,1]
	v_pk_fma_f32 v[22:23], v[58:59], s[16:17], v[22:23] op_sel:[0,0,1] op_sel_hi:[1,0,0]
	v_accvgpr_write_b32 a2, v32
	v_mov_b32_e32 v28, v20
	v_mov_b32_e32 v29, v23
	v_accvgpr_write_b32 a3, v33
	v_pk_add_f32 v[32:33], v[28:29], v[26:27]
	v_pk_mul_f32 v[28:29], v[70:71], s[28:29] op_sel_hi:[1,0]
	v_accvgpr_write_b32 a4, v34
	v_pk_fma_f32 v[26:27], v[60:61], s[26:27], v[28:29] op_sel:[0,0,1] op_sel_hi:[1,0,0] neg_lo:[0,0,1] neg_hi:[0,0,1]
	v_pk_fma_f32 v[28:29], v[60:61], s[26:27], v[28:29] op_sel:[0,0,1] op_sel_hi:[1,0,0]
	v_accvgpr_write_b32 a6, v36
	v_accvgpr_write_b32 a5, v35
	v_mov_b32_e32 v34, v26
	v_mov_b32_e32 v35, v29
	v_accvgpr_write_b32 a7, v37
	v_pk_add_f32 v[36:37], v[34:35], v[32:33]
	v_pk_mul_f32 v[34:35], v[24:25], s[38:39] op_sel_hi:[1,0]
	v_accvgpr_write_b32 a8, v38
	v_pk_fma_f32 v[32:33], v[18:19], s[20:21], v[34:35] op_sel:[0,0,1] op_sel_hi:[1,0,0] neg_lo:[0,0,1] neg_hi:[0,0,1]
	v_pk_fma_f32 v[34:35], v[18:19], s[20:21], v[34:35] op_sel:[0,0,1] op_sel_hi:[1,0,0]
	v_accvgpr_write_b32 a9, v39
	v_accvgpr_write_b32 a10, v40
	v_mov_b32_e32 v38, v32
	v_mov_b32_e32 v39, v35
	v_accvgpr_write_b32 a11, v41
	v_pk_add_f32 v[40:41], v[38:39], v[36:37]
	v_pk_mul_f32 v[38:39], v[48:49], s[30:31] op_sel_hi:[1,0]
	v_accvgpr_write_b32 a25, v55
	v_pk_fma_f32 v[36:37], v[30:31], s[4:5], v[38:39] op_sel:[0,0,1] op_sel_hi:[1,0,0] neg_lo:[0,0,1] neg_hi:[0,0,1]
	v_pk_fma_f32 v[38:39], v[30:31], s[4:5], v[38:39] op_sel:[0,0,1] op_sel_hi:[1,0,0]
	v_mov_b32_e32 v42, v36
	v_mov_b32_e32 v43, v39
	v_pk_add_f32 v[54:55], v[42:43], v[40:41]
	v_pk_mul_f32 v[42:43], v[52:53], s[36:37] op_sel_hi:[1,0]
	v_accvgpr_write_b32 a26, v56
	v_pk_fma_f32 v[40:41], v[50:51], s[6:7], v[42:43] op_sel:[0,0,1] op_sel_hi:[1,0,0] neg_lo:[0,0,1] neg_hi:[0,0,1]
	v_pk_fma_f32 v[42:43], v[50:51], s[6:7], v[42:43] op_sel:[0,0,1] op_sel_hi:[1,0,0]
	v_accvgpr_write_b32 a27, v57
	v_mov_b32_e32 v56, v40
	v_mov_b32_e32 v57, v43
	v_pk_add_f32 v[84:85], v[56:57], v[54:55]
	v_pk_mul_f32 v[54:55], v[82:83], s[34:35] op_sel_hi:[1,0]
	v_pk_mul_f32 v[56:57], v[76:77], s[28:29] op_sel_hi:[1,0]
	v_pk_fma_f32 v[86:87], v[80:81], s[4:5], v[54:55] op_sel:[0,0,1] op_sel_hi:[1,0,0] neg_lo:[0,0,1] neg_hi:[0,0,1]
	v_pk_fma_f32 v[66:67], v[80:81], s[4:5], v[54:55] op_sel:[0,0,1] op_sel_hi:[1,0,0]
	v_mov_b32_e32 v54, v86
	v_mov_b32_e32 v55, v67
	v_pk_add_f32 v[62:63], v[0:1], v[54:55]
	v_pk_fma_f32 v[54:55], v[58:59], s[26:27], v[56:57] op_sel:[0,0,1] op_sel_hi:[1,0,0] neg_lo:[0,0,1] neg_hi:[0,0,1]
	v_pk_fma_f32 v[56:57], v[58:59], s[26:27], v[56:57] op_sel:[0,0,1] op_sel_hi:[1,0,0]
	v_mov_b32_e32 v64, v54
	v_mov_b32_e32 v65, v57
	s_mov_b32 s40, 0x3f6f5d39
	v_pk_add_f32 v[72:73], v[64:65], v[62:63]
	v_pk_mul_f32 v[64:65], v[70:71], s[40:41] op_sel_hi:[1,0]
	v_pk_mul_f32 v[96:97], v[76:77], s[38:39] op_sel_hi:[1,0]
	v_pk_fma_f32 v[62:63], v[60:61], s[16:17], v[64:65] op_sel:[0,0,1] op_sel_hi:[1,0,0] neg_lo:[0,0,1] neg_hi:[0,0,1]
	v_pk_fma_f32 v[64:65], v[60:61], s[16:17], v[64:65] op_sel:[0,0,1] op_sel_hi:[1,0,0]
	v_mov_b32_e32 v74, v62
	v_mov_b32_e32 v75, v65
	v_pk_add_f32 v[88:89], v[74:75], v[72:73]
	v_pk_mul_f32 v[74:75], v[24:25], s[36:37] op_sel_hi:[1,0]
	v_pk_fma_f32 v[98:99], v[58:59], s[20:21], v[96:97] op_sel:[0,0,1] op_sel_hi:[1,0,0] neg_lo:[0,0,1] neg_hi:[0,0,1]
	v_pk_fma_f32 v[72:73], v[18:19], s[6:7], v[74:75] op_sel:[0,0,1] op_sel_hi:[1,0,0] neg_lo:[0,0,1] neg_hi:[0,0,1]
	v_pk_fma_f32 v[74:75], v[18:19], s[6:7], v[74:75] op_sel:[0,0,1] op_sel_hi:[1,0,0]
	v_mov_b32_e32 v90, v72
	v_mov_b32_e32 v91, v75
	v_pk_add_f32 v[88:89], v[90:91], v[88:89]
	v_pk_mul_f32 v[90:91], v[48:49], s[24:25] op_sel_hi:[1,0]
	v_pk_fma_f32 v[96:97], v[58:59], s[20:21], v[96:97] op_sel:[0,0,1] op_sel_hi:[1,0,0]
	v_pk_fma_f32 v[108:109], v[30:31], s[2:3], v[90:91] op_sel:[0,0,1] op_sel_hi:[1,0,0] neg_lo:[0,0,1] neg_hi:[0,0,1]
	v_pk_fma_f32 v[110:111], v[30:31], s[2:3], v[90:91] op_sel:[0,0,1] op_sel_hi:[1,0,0]
	v_mov_b32_e32 v90, v108
	v_mov_b32_e32 v91, v111
	v_pk_add_f32 v[88:89], v[90:91], v[88:89]
	v_pk_mul_f32 v[90:91], v[52:53], s[22:23] op_sel_hi:[1,0]
	v_mov_b32_e32 v100, v98
	v_pk_fma_f32 v[92:93], v[50:51], s[20:21], v[90:91] op_sel:[0,0,1] op_sel_hi:[1,0,0] neg_lo:[0,0,1] neg_hi:[0,0,1]
	v_pk_fma_f32 v[90:91], v[50:51], s[20:21], v[90:91] op_sel:[0,0,1] op_sel_hi:[1,0,0]
	v_mov_b32_e32 v94, v92
	v_mov_b32_e32 v95, v91
	v_pk_add_f32 v[88:89], v[94:95], v[88:89]
	ds_write2_b64 v113, v[84:85], v[88:89] offset0:2 offset1:3
	v_pk_mul_f32 v[84:85], v[82:83], s[18:19] op_sel_hi:[1,0]
	v_mov_b32_e32 v101, v97
	v_pk_fma_f32 v[88:89], v[80:81], s[16:17], v[84:85] op_sel:[0,0,1] op_sel_hi:[1,0,0] neg_lo:[0,0,1] neg_hi:[0,0,1]
	v_pk_fma_f32 v[84:85], v[80:81], s[16:17], v[84:85] op_sel:[0,0,1] op_sel_hi:[1,0,0]
	v_mov_b32_e32 v94, v88
	v_mov_b32_e32 v95, v85
	v_pk_add_f32 v[94:95], v[0:1], v[94:95]
	s_mov_b32 s38, 0x3f52af12
	v_pk_add_f32 v[94:95], v[100:101], v[94:95]
	v_pk_mul_f32 v[100:101], v[70:71], s[36:37] op_sel_hi:[1,0]
	v_pk_mul_f32 v[128:129], v[76:77], s[30:31] op_sel_hi:[1,0]
	v_pk_fma_f32 v[102:103], v[60:61], s[6:7], v[100:101] op_sel:[0,0,1] op_sel_hi:[1,0,0] neg_lo:[0,0,1] neg_hi:[0,0,1]
	v_pk_fma_f32 v[100:101], v[60:61], s[6:7], v[100:101] op_sel:[0,0,1] op_sel_hi:[1,0,0]
	v_mov_b32_e32 v104, v102
	v_mov_b32_e32 v105, v101
	v_pk_add_f32 v[94:95], v[104:105], v[94:95]
	v_pk_mul_f32 v[104:105], v[24:25], s[34:35] op_sel_hi:[1,0]
	s_mov_b32 s34, 0x3e750f2a
	v_pk_fma_f32 v[106:107], v[18:19], s[4:5], v[104:105] op_sel:[0,0,1] op_sel_hi:[1,0,0] neg_lo:[0,0,1] neg_hi:[0,0,1]
	v_pk_fma_f32 v[104:105], v[18:19], s[4:5], v[104:105] op_sel:[0,0,1] op_sel_hi:[1,0,0]
	v_mov_b32_e32 v114, v106
	v_mov_b32_e32 v115, v105
	v_pk_add_f32 v[94:95], v[114:115], v[94:95]
	v_pk_mul_f32 v[114:115], v[48:49], s[34:35] op_sel_hi:[1,0]
	v_pk_fma_f32 v[130:131], v[58:59], s[4:5], v[128:129] op_sel:[0,0,1] op_sel_hi:[1,0,0] neg_lo:[0,0,1] neg_hi:[0,0,1]
	v_pk_fma_f32 v[116:117], v[30:31], s[26:27], v[114:115] op_sel:[0,0,1] op_sel_hi:[1,0,0] neg_lo:[0,0,1] neg_hi:[0,0,1]
	v_pk_fma_f32 v[114:115], v[30:31], s[26:27], v[114:115] op_sel:[0,0,1] op_sel_hi:[1,0,0]
	v_mov_b32_e32 v118, v116
	v_mov_b32_e32 v119, v115
	v_pk_add_f32 v[94:95], v[118:119], v[94:95]
	v_pk_mul_f32 v[118:119], v[52:53], s[38:39] op_sel_hi:[1,0]
	v_pk_fma_f32 v[128:129], v[58:59], s[4:5], v[128:129] op_sel:[0,0,1] op_sel_hi:[1,0,0]
	v_pk_fma_f32 v[120:121], v[50:51], s[2:3], v[118:119] op_sel:[0,0,1] op_sel_hi:[1,0,0] neg_lo:[0,0,1] neg_hi:[0,0,1]
	v_pk_fma_f32 v[118:119], v[50:51], s[2:3], v[118:119] op_sel:[0,0,1] op_sel_hi:[1,0,0]
	v_mov_b32_e32 v122, v120
	v_mov_b32_e32 v123, v119
	v_pk_add_f32 v[94:95], v[122:123], v[94:95]
	v_pk_mul_f32 v[122:123], v[82:83], s[22:23] op_sel_hi:[1,0]
	v_mov_b32_e32 v132, v130
	v_pk_fma_f32 v[124:125], v[80:81], s[20:21], v[122:123] op_sel:[0,0,1] op_sel_hi:[1,0,0] neg_lo:[0,0,1] neg_hi:[0,0,1]
	v_pk_fma_f32 v[122:123], v[80:81], s[20:21], v[122:123] op_sel:[0,0,1] op_sel_hi:[1,0,0]
	v_mov_b32_e32 v126, v124
	v_mov_b32_e32 v127, v123
	v_pk_add_f32 v[126:127], v[0:1], v[126:127]
	v_mov_b32_e32 v133, v129
	v_pk_add_f32 v[126:127], v[132:133], v[126:127]
	v_pk_mul_f32 v[132:133], v[70:71], s[24:25] op_sel_hi:[1,0]
	v_pk_mul_f32 v[82:83], v[82:83], s[28:29] op_sel_hi:[1,0]
	v_pk_fma_f32 v[134:135], v[60:61], s[2:3], v[132:133] op_sel:[0,0,1] op_sel_hi:[1,0,0] neg_lo:[0,0,1] neg_hi:[0,0,1]
	v_pk_fma_f32 v[132:133], v[60:61], s[2:3], v[132:133] op_sel:[0,0,1] op_sel_hi:[1,0,0]
	v_mov_b32_e32 v136, v134
	v_mov_b32_e32 v137, v133
	v_pk_add_f32 v[126:127], v[136:137], v[126:127]
	v_pk_mul_f32 v[136:137], v[24:25], s[34:35] op_sel_hi:[1,0]
	v_pk_mul_f32 v[76:77], v[76:77], s[36:37] op_sel_hi:[1,0]
	v_pk_fma_f32 v[138:139], v[18:19], s[26:27], v[136:137] op_sel:[0,0,1] op_sel_hi:[1,0,0] neg_lo:[0,0,1] neg_hi:[0,0,1]
	v_pk_fma_f32 v[136:137], v[18:19], s[26:27], v[136:137] op_sel:[0,0,1] op_sel_hi:[1,0,0]
	v_mov_b32_e32 v140, v138
	;; [unrolled: 7-line block ×4, first 2 shown]
	v_mov_b32_e32 v149, v145
	v_pk_add_f32 v[126:127], v[148:149], v[126:127]
	ds_write2_b64 v113, v[94:95], v[126:127] offset0:4 offset1:5
	v_pk_fma_f32 v[94:95], v[80:81], s[26:27], v[82:83] op_sel:[0,0,1] op_sel_hi:[1,0,0] neg_lo:[0,0,1] neg_hi:[0,0,1]
	v_pk_fma_f32 v[80:81], v[80:81], s[26:27], v[82:83] op_sel:[0,0,1] op_sel_hi:[1,0,0]
	v_pk_fma_f32 v[82:83], v[58:59], s[6:7], v[76:77] op_sel:[0,0,1] op_sel_hi:[1,0,0] neg_lo:[0,0,1] neg_hi:[0,0,1]
	v_pk_fma_f32 v[58:59], v[58:59], s[6:7], v[76:77] op_sel:[0,0,1] op_sel_hi:[1,0,0]
	v_mov_b32_e32 v76, v94
	v_mov_b32_e32 v77, v81
	v_pk_add_f32 v[76:77], v[0:1], v[76:77]
	v_mov_b32_e32 v126, v82
	v_mov_b32_e32 v127, v59
	v_pk_add_f32 v[76:77], v[126:127], v[76:77]
	v_pk_fma_f32 v[126:127], v[60:61], s[20:21], v[70:71] op_sel:[0,0,1] op_sel_hi:[1,0,0] neg_lo:[0,0,1] neg_hi:[0,0,1]
	v_pk_fma_f32 v[60:61], v[60:61], s[20:21], v[70:71] op_sel:[0,0,1] op_sel_hi:[1,0,0]
	v_mov_b32_e32 v70, v126
	v_mov_b32_e32 v71, v61
	v_pk_add_f32 v[70:71], v[70:71], v[76:77]
	v_pk_fma_f32 v[76:77], v[18:19], s[2:3], v[24:25] op_sel:[0,0,1] op_sel_hi:[1,0,0] neg_lo:[0,0,1] neg_hi:[0,0,1]
	v_pk_fma_f32 v[18:19], v[18:19], s[2:3], v[24:25] op_sel:[0,0,1] op_sel_hi:[1,0,0]
	v_mov_b32_e32 v24, v76
	v_mov_b32_e32 v25, v19
	v_pk_mul_f32 v[48:49], v[48:49], s[18:19] op_sel_hi:[1,0]
	v_pk_add_f32 v[24:25], v[24:25], v[70:71]
	v_pk_fma_f32 v[70:71], v[30:31], s[16:17], v[48:49] op_sel:[0,0,1] op_sel_hi:[1,0,0] neg_lo:[0,0,1] neg_hi:[0,0,1]
	v_pk_fma_f32 v[30:31], v[30:31], s[16:17], v[48:49] op_sel:[0,0,1] op_sel_hi:[1,0,0]
	v_mov_b32_e32 v48, v70
	v_mov_b32_e32 v49, v31
	v_pk_add_f32 v[24:25], v[48:49], v[24:25]
	v_pk_mul_f32 v[48:49], v[52:53], s[30:31] op_sel_hi:[1,0]
	v_mov_b32_e32 v81, v95
	v_pk_fma_f32 v[52:53], v[50:51], s[4:5], v[48:49] op_sel:[0,0,1] op_sel_hi:[1,0,0] neg_lo:[0,0,1] neg_hi:[0,0,1]
	v_pk_fma_f32 v[48:49], v[50:51], s[4:5], v[48:49] op_sel:[0,0,1] op_sel_hi:[1,0,0]
	v_mov_b32_e32 v50, v52
	v_mov_b32_e32 v51, v49
	v_pk_add_f32 v[24:25], v[50:51], v[24:25]
	v_mov_b32_e32 v59, v83
	v_pk_add_f32 v[50:51], v[0:1], v[80:81]
	;; [unrolled: 2-line block ×7, first 2 shown]
	v_mov_b32_e32 v85, v89
	ds_write2_b64 v113, v[24:25], v[18:19] offset0:6 offset1:7
	v_mov_b32_e32 v129, v131
	v_pk_add_f32 v[18:19], v[0:1], v[122:123]
	v_mov_b32_e32 v97, v99
	v_pk_add_f32 v[24:25], v[0:1], v[84:85]
	v_pk_add_f32 v[18:19], v[128:129], v[18:19]
	v_mov_b32_e32 v133, v135
	v_pk_add_f32 v[24:25], v[96:97], v[24:25]
	v_mov_b32_e32 v101, v103
	;; [unrolled: 2-line block ×8, first 2 shown]
	v_mov_b32_e32 v4, v6
	v_pk_add_f32 v[18:19], v[144:145], v[18:19]
	v_pk_add_f32 v[24:25], v[118:119], v[24:25]
	v_mov_b32_e32 v67, v87
	v_mov_b32_e32 v45, v47
	v_pk_add_f32 v[4:5], v[0:1], v[4:5]
	v_mov_b32_e32 v6, v2
	ds_write2_b64 v113, v[18:19], v[24:25] offset0:8 offset1:9
	v_pk_add_f32 v[18:19], v[0:1], v[66:67]
	v_pk_add_f32 v[0:1], v[0:1], v[44:45]
	;; [unrolled: 1-line block ×3, first 2 shown]
	v_mov_b32_e32 v2, v8
	v_mov_b32_e32 v57, v55
	;; [unrolled: 1-line block ×3, first 2 shown]
	v_pk_add_f32 v[2:3], v[2:3], v[4:5]
	v_pk_add_f32 v[4:5], v[56:57], v[18:19]
	v_mov_b32_e32 v65, v63
	v_pk_add_f32 v[0:1], v[22:23], v[0:1]
	v_mov_b32_e32 v29, v27
	v_mov_b32_e32 v8, v10
	v_pk_add_f32 v[4:5], v[64:65], v[4:5]
	v_mov_b32_e32 v75, v73
	v_pk_add_f32 v[0:1], v[28:29], v[0:1]
	;; [unrolled: 2-line block ×9, first 2 shown]
	v_pk_add_f32 v[2:3], v[90:91], v[4:5]
	v_pk_add_f32 v[0:1], v[42:43], v[0:1]
	ds_write2_b64 v113, v[2:3], v[0:1] offset0:10 offset1:11
	ds_write_b64 v113, v[12:13] offset:96
	s_waitcnt lgkmcnt(0)
	s_barrier
	ds_read2_b64 v[36:39], v112 offset1:68
	ds_read2_b64 v[16:19], v112 offset0:136 offset1:221
	ds_read2_b64 v[40:43], v69 offset0:186 offset1:254
	;; [unrolled: 1-line block ×4, first 2 shown]
	v_add_u32_e32 v0, 0x1400, v112
	s_load_dwordx2 s[16:17], s[0:1], 0x38
	ds_read2_b64 v[24:27], v0 offset0:91 offset1:159
	v_cmp_lt_u16_e32 vcc, 16, v170
	v_cmp_gt_u16_e64 s[2:3], 17, v170
                                        ; implicit-def: $vgpr46
	s_and_saveexec_b64 s[0:1], s[2:3]
	s_cbranch_execz .LBB0_3
; %bb.2:
	v_add_u32_e32 v1, 0x600, v112
	ds_read2_b64 v[12:15], v1 offset0:12 offset1:233
	ds_read2_b64 v[44:47], v0 offset0:6 offset1:227
.LBB0_3:
	s_or_b64 exec, exec, s[0:1]
	s_movk_i32 s4, 0x4f
	v_mul_lo_u16_sdwa v0, v170, s4 dst_sel:DWORD dst_unused:UNUSED_PAD src0_sel:BYTE_0 src1_sel:DWORD
	v_lshrrev_b16_e32 v67, 10, v0
	v_add_u16_e32 v0, 0x44, v170
	v_mul_lo_u16_sdwa v1, v0, s4 dst_sel:DWORD dst_unused:UNUSED_PAD src0_sel:BYTE_0 src1_sel:DWORD
	v_lshrrev_b16_e32 v69, 10, v1
	v_mul_lo_u16_e32 v1, 13, v69
	v_sub_u16_e32 v0, v0, v1
	v_and_b32_e32 v82, 0xff, v0
	v_mad_u64_u32 v[4:5], s[0:1], v82, 24, s[14:15]
	v_add_u16_e32 v66, 0xcc, v170
	global_load_dwordx2 v[72:73], v[4:5], off offset:16
	global_load_dwordx4 v[0:3], v[4:5], off
	v_mul_u32_u24_e32 v4, 0x4ec5, v66
	v_lshrrev_b32_e32 v4, 18, v4
	v_accvgpr_write_b32 a28, v4
	v_mul_lo_u16_e32 v4, 13, v4
	v_sub_u16_e32 v4, v66, v4
	v_accvgpr_write_b32 a29, v4
	v_mul_lo_u16_e32 v4, 24, v4
	v_mov_b32_e32 v5, 0
	v_lshl_add_u64 v[4:5], s[14:15], 0, v[4:5]
	global_load_dwordx2 v[74:75], v[4:5], off offset:16
	global_load_dwordx4 v[8:11], v[4:5], off
	v_mul_lo_u16_e32 v4, 13, v67
	v_sub_u16_e32 v4, v170, v4
	v_and_b32_e32 v83, 0xff, v4
	v_mad_u64_u32 v[20:21], s[0:1], v83, 24, s[14:15]
	global_load_dwordx4 v[4:7], v[20:21], off
	global_load_dwordx2 v[86:87], v[20:21], off offset:16
	v_add_u16_e32 v20, 0x88, v170
	v_mul_lo_u16_sdwa v21, v20, s4 dst_sel:DWORD dst_unused:UNUSED_PAD src0_sel:BYTE_0 src1_sel:DWORD
	v_lshrrev_b16_e32 v84, 10, v21
	v_mul_lo_u16_e32 v21, 13, v84
	v_sub_u16_e32 v20, v20, v21
	v_and_b32_e32 v85, 0xff, v20
	v_mad_u64_u32 v[48:49], s[0:1], v85, 24, s[14:15]
	global_load_dwordx4 v[20:23], v[48:49], off
	global_load_dwordx2 v[110:111], v[48:49], off offset:16
	s_waitcnt lgkmcnt(0)
	v_mov_b32_e32 v48, v33
	v_mov_b32_e32 v50, v25
	s_barrier
	s_waitcnt vmcnt(7)
	v_mov_b32_e32 v60, v73
	s_waitcnt vmcnt(6)
	v_mov_b32_e32 v54, v1
	v_mul_f32_e32 v49, v43, v3
	v_pk_mul_f32 v[52:53], v[32:33], v[0:1]
	v_fma_f32 v61, v42, v2, -v49
	v_pk_mul_f32 v[58:59], v[24:25], v[72:73]
	v_pk_mul_f32 v[24:25], v[24:25], v[60:61]
	v_mul_f32_e32 v56, v42, v3
	v_fmac_f32_e32 v56, v43, v2
	v_mov_b32_e32 v42, v52
	s_waitcnt vmcnt(5)
	v_mul_f32_e32 v57, v47, v75
	s_waitcnt vmcnt(4)
	v_mul_f32_e32 v55, v45, v11
	v_mul_f32_e32 v78, v44, v11
	;; [unrolled: 1-line block ×5, first 2 shown]
	s_waitcnt vmcnt(3)
	v_mov_b32_e32 v64, v7
	v_pk_mul_f32 v[62:63], v[18:19], v[4:5] op_sel_hi:[1,0]
	s_waitcnt vmcnt(2)
	v_pk_mul_f32 v[70:71], v[30:31], v[86:87] op_sel_hi:[1,0]
	v_pk_mul_f32 v[32:33], v[32:33], v[54:55]
	v_fma_f32 v79, v44, v10, -v55
	v_fmac_f32_e32 v78, v45, v10
	v_pk_mul_f32 v[44:45], v[40:41], v[64:65] op_sel_hi:[1,0]
	v_fma_f32 v60, v14, v8, -v51
	v_fmac_f32_e32 v76, v15, v8
	v_fma_f32 v77, v46, v74, -v57
	v_fmac_f32_e32 v80, v47, v74
	v_pk_fma_f32 v[14:15], v[18:19], v[4:5], v[62:63] op_sel:[0,1,1] op_sel_hi:[1,1,0]
	v_pk_fma_f32 v[18:19], v[18:19], v[4:5], v[62:63] op_sel:[0,1,1] op_sel_hi:[1,1,0] neg_lo:[1,0,0] neg_hi:[1,0,0]
	v_pk_fma_f32 v[46:47], v[30:31], v[86:87], v[70:71] op_sel:[0,1,1] op_sel_hi:[1,1,0]
	v_pk_fma_f32 v[30:31], v[30:31], v[86:87], v[70:71] op_sel:[0,1,1] op_sel_hi:[1,1,0] neg_lo:[1,0,0] neg_hi:[1,0,0]
	v_pk_fma_f32 v[32:33], v[48:49], v[0:1], v[32:33]
	v_pk_fma_f32 v[48:49], v[40:41], v[6:7], v[44:45] op_sel:[0,0,1] op_sel_hi:[1,1,0] neg_lo:[0,0,1] neg_hi:[0,0,1]
	v_pk_fma_f32 v[40:41], v[40:41], v[6:7], v[44:45] op_sel:[0,0,1] op_sel_hi:[1,0,0]
	v_mov_b32_e32 v15, v19
	v_mov_b32_e32 v47, v31
	;; [unrolled: 1-line block ×5, first 2 shown]
	v_pk_add_f32 v[30:31], v[14:15], v[46:47] neg_lo:[0,1] neg_hi:[0,1]
	v_pk_add_f32 v[40:41], v[36:37], v[48:49] neg_lo:[0,1] neg_hi:[0,1]
	;; [unrolled: 1-line block ×3, first 2 shown]
	v_fma_f32 v18, v19, 2.0, -v31
	v_fma_f32 v19, v14, 2.0, -v30
	v_pk_add_f32 v[14:15], v[40:41], v[30:31]
	v_fma_f32 v36, v36, 2.0, -v40
	v_fma_f32 v37, v37, 2.0, -v41
	v_mov_b32_e32 v14, v43
	v_pk_fma_f32 v[24:25], v[50:51], v[72:73], v[24:25]
	v_pk_add_f32 v[54:55], v[40:41], v[30:31] neg_lo:[0,1] neg_hi:[0,1]
	v_pk_add_f32 v[52:53], v[36:37], v[18:19] neg_lo:[0,1] neg_hi:[0,1]
	v_add_f32_e32 v19, v38, v38
	v_pk_add_f32 v[30:31], v[42:43], v[14:15] neg_lo:[0,1] neg_hi:[0,1]
	v_sub_f32_e32 v57, v38, v61
	v_mov_b32_e32 v18, v39
	v_add_f32_e32 v33, v42, v42
	v_mov_b32_e32 v25, v30
	v_pk_add_f32 v[18:19], v[18:19], v[56:57] neg_lo:[0,1] neg_hi:[0,1]
	v_pk_fma_f32 v[48:49], v[36:37], 2.0, v[52:53] op_sel_hi:[1,0,1] neg_lo:[0,0,1] neg_hi:[0,0,1]
	v_pk_add_f32 v[24:25], v[32:33], v[24:25] neg_lo:[0,1] neg_hi:[0,1]
	v_fma_f32 v36, v39, 2.0, -v18
	v_mov_b32_e32 v38, v57
	v_mov_b32_e32 v39, v19
	v_pk_add_f32 v[70:71], v[38:39], v[24:25] neg_lo:[0,1] neg_hi:[0,1]
	s_waitcnt vmcnt(1)
	v_mov_b32_e32 v14, v23
	v_accvgpr_write_b32 a30, v72
	v_fma_f32 v32, v32, 2.0, -v24
	v_add_f32_e32 v37, v57, v57
	v_pk_add_f32 v[120:121], v[18:19], v[30:31]
	v_mov_b32_e32 v33, v70
	v_pk_mul_f32 v[30:31], v[28:29], v[14:15] op_sel_hi:[1,0]
	v_accvgpr_write_b32 a32, v74
	v_accvgpr_write_b32 a31, v73
	v_pk_add_f32 v[72:73], v[36:37], v[32:33] neg_lo:[0,1] neg_hi:[0,1]
	v_mov_b32_e32 v121, v71
	v_pk_fma_f32 v[32:33], v[28:29], v[22:23], v[30:31] op_sel:[0,0,1] op_sel_hi:[1,1,0] neg_lo:[0,0,1] neg_hi:[0,0,1]
	v_pk_fma_f32 v[28:29], v[28:29], v[22:23], v[30:31] op_sel:[0,0,1] op_sel_hi:[1,0,0]
	v_accvgpr_write_b32 a33, v75
	v_pk_fma_f32 v[74:75], v[18:19], 2.0, v[120:121] op_sel_hi:[1,0,1] neg_lo:[0,0,1] neg_hi:[0,0,1]
	v_pk_mul_f32 v[18:19], v[34:35], v[20:21] op_sel_hi:[1,0]
	v_mov_b32_e32 v33, v29
	s_waitcnt vmcnt(0)
	v_pk_mul_f32 v[28:29], v[26:27], v[110:111] op_sel_hi:[1,0]
	v_mov_b32_e32 v14, v111
	v_pk_fma_f32 v[24:25], v[34:35], v[20:21], v[18:19] op_sel:[0,1,1] op_sel_hi:[1,1,0]
	v_pk_fma_f32 v[18:19], v[34:35], v[20:21], v[18:19] op_sel:[0,1,1] op_sel_hi:[1,1,0] neg_lo:[1,0,0] neg_hi:[1,0,0]
	v_pk_fma_f32 v[30:31], v[26:27], v[14:15], v[28:29] op_sel:[0,0,1] op_sel_hi:[1,1,0]
	v_pk_fma_f32 v[26:27], v[26:27], v[110:111], v[28:29] op_sel:[0,1,1] op_sel_hi:[1,1,0] neg_lo:[1,0,0] neg_hi:[1,0,0]
	v_mov_b32_e32 v25, v19
	v_mov_b32_e32 v31, v27
	v_pk_add_f32 v[28:29], v[24:25], v[30:31] neg_lo:[0,1] neg_hi:[0,1]
	v_add_f32_e32 v25, v12, v12
	v_fma_f32 v14, v24, 2.0, -v28
	v_sub_f32_e32 v79, v12, v79
	v_mov_b32_e32 v24, v13
	v_pk_add_f32 v[26:27], v[16:17], v[32:33] neg_lo:[0,1] neg_hi:[0,1]
	v_sub_f32_e32 v81, v60, v77
	v_add_f32_e32 v77, v60, v60
	v_pk_add_f32 v[24:25], v[24:25], v[78:79] neg_lo:[0,1] neg_hi:[0,1]
	v_fma_f32 v65, v36, 2.0, -v72
	v_fma_f32 v31, v19, 2.0, -v29
	v_pk_add_f32 v[62:63], v[26:27], v[28:29] neg_lo:[0,1] neg_hi:[0,1]
	v_pk_add_f32 v[18:19], v[26:27], v[28:29]
	v_pk_add_f32 v[28:29], v[76:77], v[80:81] neg_lo:[0,1] neg_hi:[0,1]
	v_mov_b32_e32 v36, v79
	v_mov_b32_e32 v37, v25
	v_fma_f32 v12, v76, 2.0, -v28
	v_pk_add_f32 v[76:77], v[36:37], v[28:29] neg_lo:[0,1] neg_hi:[0,1]
	v_add_f32_e32 v33, v79, v79
	v_fma_f32 v32, v13, 2.0, -v24
	v_mov_b32_e32 v13, v76
	v_pk_add_f32 v[118:119], v[32:33], v[12:13] neg_lo:[0,1] neg_hi:[0,1]
	v_pk_fma_f32 v[12:13], v[16:17], 2.0, v[26:27] op_sel_hi:[1,0,1] neg_lo:[0,0,1] neg_hi:[0,0,1]
	v_add_f32_e32 v34, v32, v32
	v_mov_b32_e32 v30, v118
	v_mov_b32_e32 v35, v12
	v_pk_add_f32 v[122:123], v[34:35], v[30:31] neg_lo:[0,1] neg_hi:[0,1]
	v_sub_f32_e32 v61, v13, v14
	v_mov_b32_e32 v60, v123
	v_pk_fma_f32 v[56:57], v[12:13], 2.0, v[60:61] op_sel_hi:[1,0,1] neg_lo:[0,0,1] neg_hi:[0,0,1]
	v_mul_u32_u24_e32 v12, 52, v67
	v_mov_b32_e32 v55, v15
	v_add_u32_e32 v12, v12, v83
	v_accvgpr_read_b32 v14, a13
	v_pk_fma_f32 v[50:51], v[40:41], 2.0, v[54:55] op_sel_hi:[1,0,1] neg_lo:[0,0,1] neg_hi:[0,0,1]
	v_lshl_add_u32 v12, v12, 3, v14
	ds_write2_b64 v12, v[48:49], v[50:51] offset1:13
	v_accvgpr_write_b32 a37, v12
	ds_write2_b64 v12, v[52:53], v[54:55] offset0:26 offset1:39
	v_mul_u32_u24_e32 v12, 52, v69
	v_add_u32_e32 v12, v12, v82
	v_lshl_add_u32 v18, v12, 3, v14
	v_mov_b32_e32 v64, v75
	v_mov_b32_e32 v12, v73
	;; [unrolled: 1-line block ×3, first 2 shown]
	ds_write2_b64 v18, v[64:65], v[12:13] offset1:13
	v_mov_b32_e32 v12, v71
	v_mov_b32_e32 v13, v72
	;; [unrolled: 1-line block ×4, first 2 shown]
	ds_write2_b64 v18, v[12:13], v[16:17] offset0:26 offset1:39
	v_mul_u32_u24_e32 v12, 52, v84
	v_add_u32_e32 v12, v12, v85
	v_accvgpr_write_b32 a34, v86
	v_mov_b32_e32 v63, v19
	v_lshl_add_u32 v12, v12, 3, v14
	v_accvgpr_write_b32 a35, v87
	v_pk_fma_f32 v[58:59], v[26:27], 2.0, v[62:63] op_sel_hi:[1,0,1] neg_lo:[0,0,1] neg_hi:[0,0,1]
	v_add_f32_e32 v124, v24, v81
	v_mov_b32_e32 v125, v77
	v_accvgpr_write_b32 a36, v18
	v_accvgpr_write_b32 a38, v12
	ds_write2_b64 v12, v[56:57], v[58:59] offset1:13
	ds_write2_b64 v12, v[60:61], v[62:63] offset0:26 offset1:39
	s_and_saveexec_b64 s[0:1], vcc
	s_xor_b64 s[0:1], exec, s[0:1]
; %bb.4:
                                        ; implicit-def: $vgpr66
; %bb.5:
	s_or_saveexec_b64 s[0:1], s[0:1]
	v_pk_fma_f32 v[146:147], v[24:25], 2.0, v[124:125] op_sel_hi:[1,0,1] neg_lo:[0,0,1] neg_hi:[0,0,1]
	s_xor_b64 exec, exec, s[0:1]
	s_cbranch_execz .LBB0_7
; %bb.6:
	v_mul_u32_u24_e32 v12, 0x4ec5, v66
	v_lshrrev_b32_e32 v12, 18, v12
	v_accvgpr_read_b32 v13, a29
	v_mad_legacy_u16 v12, v12, 52, v13
	v_accvgpr_read_b32 v13, a13
	v_lshl_add_u32 v14, v12, 3, v13
	v_mov_b32_e32 v12, v147
	v_mov_b32_e32 v13, v122
	;; [unrolled: 1-line block ×4, first 2 shown]
	ds_write2_b64 v14, v[12:13], v[16:17] offset1:13
	v_mov_b32_e32 v12, v77
	v_mov_b32_e32 v13, v118
	;; [unrolled: 1-line block ×4, first 2 shown]
	ds_write2_b64 v14, v[12:13], v[16:17] offset0:26 offset1:39
.LBB0_7:
	s_or_b64 exec, exec, s[0:1]
	v_cmp_gt_u16_e64 s[0:1], 52, v170
	v_cmp_lt_u16_e64 s[4:5], 51, v170
	s_waitcnt lgkmcnt(0)
	s_barrier
	s_waitcnt lgkmcnt(0)
                                        ; implicit-def: $vgpr64
                                        ; implicit-def: $vgpr60
	s_and_saveexec_b64 s[6:7], s[4:5]
	s_xor_b64 s[6:7], exec, s[6:7]
; %bb.8:
	v_mov_b32_e32 v64, v15
	v_mov_b32_e32 v60, v19
; %bb.9:
	s_or_saveexec_b64 s[6:7], s[6:7]
                                        ; implicit-def: $vgpr130
                                        ; implicit-def: $vgpr126
	s_xor_b64 exec, exec, s[6:7]
	s_cbranch_execz .LBB0_11
; %bb.10:
	v_add_u32_e32 v12, 0x400, v112
	v_add_u32_e32 v16, 0x800, v112
	ds_read2_b64 v[48:51], v112 offset1:52
	ds_read2_b64 v[52:55], v112 offset0:104 offset1:156
	ds_read2_b64 v[64:67], v12 offset0:80 offset1:132
	;; [unrolled: 1-line block ×4, first 2 shown]
	v_add_u32_e32 v16, 0x1400, v112
	v_add_u32_e32 v24, 0x1000, v112
	ds_read2_b64 v[16:19], v16 offset0:88 offset1:140
	ds_read2_b64 v[60:63], v24 offset0:8 offset1:60
	;; [unrolled: 1-line block ×3, first 2 shown]
	ds_read_b64 v[130:131], v112 offset:6656
	s_waitcnt lgkmcnt(5)
	v_mov_b32_e32 v70, v14
	v_mov_b32_e32 v71, v12
	s_waitcnt lgkmcnt(2)
	v_mov_b32_e32 v123, v60
	v_mov_b32_e32 v76, v18
	;; [unrolled: 1-line block ×4, first 2 shown]
	s_waitcnt lgkmcnt(1)
	v_mov_b32_e32 v119, v26
	v_mov_b32_e32 v146, v27
	;; [unrolled: 1-line block ×12, first 2 shown]
	s_waitcnt lgkmcnt(0)
	v_mov_b32_e32 v126, v131
.LBB0_11:
	s_or_b64 exec, exec, s[6:7]
	s_movk_i32 s6, 0xfcc0
	v_lshlrev_b32_e32 v14, 4, v170
	v_mov_b32_e32 v15, 0
	s_mov_b32 s7, -1
	v_lshl_add_u64 v[12:13], v[14:15], 0, s[6:7]
	v_cndmask_b32_e64 v13, v13, 0, s[0:1]
	v_cndmask_b32_e64 v12, v12, v14, s[0:1]
	v_lshl_add_u64 v[32:33], v[12:13], 3, s[14:15]
	v_accvgpr_write_b32 a39, v15
	global_load_dwordx4 v[40:43], v[32:33], off offset:312
	global_load_dwordx4 v[28:31], v[32:33], off offset:424
	;; [unrolled: 1-line block ×7, first 2 shown]
	s_nop 0
	global_load_dwordx4 v[32:35], v[32:33], off offset:408
	v_mov_b32_e32 v66, v65
	s_mov_b32 s36, 0xbf65296c
	s_mov_b32 s20, 0x3ee437d1
	;; [unrolled: 1-line block ×4, first 2 shown]
	v_mov_b32_e32 v78, v61
	s_mov_b32 s30, 0x3e3c28d5
	s_mov_b32 s28, 0xbf7ba420
	;; [unrolled: 1-line block ×18, first 2 shown]
	s_waitcnt vmcnt(7)
	v_mov_b32_e32 v102, v43
	v_mov_b32_e32 v103, v42
	v_pk_mul_f32 v[80:81], v[50:51], v[40:41] op_sel:[1,1] op_sel_hi:[1,0]
	s_waitcnt vmcnt(6)
	v_pk_mul_f32 v[84:85], v[126:127], v[30:31] op_sel_hi:[0,1]
	v_pk_mul_f32 v[82:83], v[124:125], v[28:29] op_sel_hi:[0,1]
	s_waitcnt vmcnt(5)
	v_pk_mul_f32 v[64:65], v[64:65], v[44:45] op_sel:[0,1] op_sel_hi:[0,0]
	v_pk_mul_f32 v[66:67], v[66:67], v[46:47] op_sel_hi:[0,1]
	s_waitcnt vmcnt(4)
	v_pk_mul_f32 v[86:87], v[74:75], v[36:37] op_sel:[0,1] op_sel_hi:[0,0]
	v_pk_mul_f32 v[88:89], v[72:73], v[38:39] op_sel_hi:[0,1]
	s_waitcnt vmcnt(0)
	v_pk_mul_f32 v[100:101], v[118:119], v[34:35] op_sel_hi:[0,1]
	v_pk_fma_f32 v[128:129], v[50:51], v[40:41], v[80:81] neg_lo:[0,0,1] neg_hi:[0,0,1]
	v_pk_fma_f32 v[50:51], v[50:51], v[40:41], v[80:81] op_sel_hi:[0,1,1]
	v_pk_mul_f32 v[80:81], v[52:53], v[102:103] op_sel:[1,0]
	v_pk_fma_f32 v[126:127], v[130:131], v[30:31], v[84:85] op_sel:[0,0,1] op_sel_hi:[1,1,0] neg_lo:[0,0,1] neg_hi:[0,0,1]
	v_pk_fma_f32 v[84:85], v[130:131], v[30:31], v[84:85] op_sel:[0,0,1] op_sel_hi:[0,1,0]
	v_pk_fma_f32 v[124:125], v[76:77], v[28:29], v[82:83] op_sel:[0,0,1] op_sel_hi:[1,1,0] neg_lo:[0,0,1] neg_hi:[0,0,1]
	v_pk_fma_f32 v[82:83], v[76:77], v[28:29], v[82:83] op_sel:[0,0,1] op_sel_hi:[0,1,0]
	v_pk_fma_f32 v[130:131], v[54:55], v[44:45], v[64:65] neg_lo:[0,0,1] neg_hi:[0,0,1]
	v_pk_fma_f32 v[54:55], v[54:55], v[44:45], v[64:65] op_sel_hi:[0,1,1]
	v_pk_fma_f32 v[132:133], v[74:75], v[46:47], v[66:67] op_sel:[1,0,1] op_sel_hi:[1,1,0] neg_lo:[0,0,1] neg_hi:[0,0,1]
	v_pk_fma_f32 v[64:65], v[74:75], v[46:47], v[66:67] op_sel:[1,0,1] op_sel_hi:[1,1,0]
	v_pk_fma_f32 v[74:75], v[72:73], v[36:37], v[86:87] op_sel:[1,0,0] neg_lo:[0,0,1] neg_hi:[0,0,1]
	v_pk_fma_f32 v[66:67], v[72:73], v[36:37], v[86:87] op_sel:[1,0,0]
	v_pk_fma_f32 v[134:135], v[70:71], v[38:39], v[88:89] op_sel:[1,0,1] op_sel_hi:[1,1,0] neg_lo:[0,0,1] neg_hi:[0,0,1]
	v_pk_fma_f32 v[72:73], v[70:71], v[38:39], v[88:89] op_sel:[1,0,1] op_sel_hi:[1,1,0]
	v_pk_fma_f32 v[148:149], v[76:77], v[34:35], v[100:101] op_sel:[1,0,1] op_sel_hi:[1,1,0] neg_lo:[0,0,1] neg_hi:[0,0,1]
	v_pk_fma_f32 v[88:89], v[76:77], v[34:35], v[100:101] op_sel:[1,0,1] op_sel_hi:[1,1,0]
	v_mov_b32_e32 v129, v51
	v_pk_fma_f32 v[76:77], v[52:53], v[42:43], v[80:81] neg_lo:[0,0,1] neg_hi:[0,0,1]
	v_pk_fma_f32 v[50:51], v[52:53], v[42:43], v[80:81] op_sel_hi:[0,1,1]
	v_mov_b32_e32 v127, v85
	v_pk_mul_f32 v[92:93], v[56:57], v[14:15] op_sel:[1,0]
	v_mov_b32_e32 v125, v83
	v_mov_b32_e32 v77, v51
	v_pk_add_f32 v[150:151], v[128:129], v[126:127] neg_lo:[0,1] neg_hi:[0,1]
	v_pk_fma_f32 v[138:139], v[56:57], v[14:15], v[92:93] op_sel:[0,0,1] op_sel_hi:[1,1,0] neg_lo:[0,0,1] neg_hi:[0,0,1]
	v_pk_fma_f32 v[56:57], v[56:57], v[14:15], v[92:93] op_sel:[0,0,1] op_sel_hi:[0,1,0]
	v_mov_b32_e32 v131, v55
	v_pk_add_f32 v[54:55], v[128:129], v[126:127]
	v_pk_add_f32 v[152:153], v[76:77], v[124:125] neg_lo:[0,1] neg_hi:[0,1]
	v_pk_mul_f32 v[50:51], v[150:151], s[36:37] op_sel:[1,0] op_sel_hi:[0,0]
	v_mov_b32_e32 v139, v57
	v_pk_add_f32 v[56:57], v[76:77], v[124:125]
	v_pk_fma_f32 v[162:163], v[54:55], s[20:21], v[50:51] op_sel_hi:[1,0,1]
	v_pk_fma_f32 v[164:165], v[54:55], s[20:21], v[50:51] op_sel_hi:[1,0,1] neg_lo:[0,0,1] neg_hi:[0,0,1]
	v_pk_mul_f32 v[52:53], v[152:153], s[26:27] op_sel:[1,0] op_sel_hi:[0,0]
	v_pk_mul_f32 v[94:95], v[58:59], v[16:17] op_sel:[1,0]
	v_mov_b32_e32 v149, v89
	v_mov_b32_e32 v50, v162
	;; [unrolled: 1-line block ×3, first 2 shown]
	v_pk_fma_f32 v[166:167], v[56:57], s[24:25], v[52:53] op_sel_hi:[1,0,1]
	v_pk_fma_f32 v[168:169], v[56:57], s[24:25], v[52:53] op_sel_hi:[1,0,1] neg_lo:[0,0,1] neg_hi:[0,0,1]
	v_pk_mul_f32 v[78:79], v[78:79], v[18:19] op_sel_hi:[0,1]
	v_pk_mul_f32 v[60:61], v[60:61], v[24:25] op_sel_hi:[0,1]
	;; [unrolled: 1-line block ×4, first 2 shown]
	v_pk_fma_f32 v[140:141], v[58:59], v[16:17], v[94:95] op_sel:[0,0,1] op_sel_hi:[1,1,0] neg_lo:[0,0,1] neg_hi:[0,0,1]
	v_pk_fma_f32 v[58:59], v[58:59], v[16:17], v[94:95] op_sel:[0,0,1] op_sel_hi:[0,1,0]
	v_pk_add_f32 v[154:155], v[130:131], v[148:149] neg_lo:[0,1] neg_hi:[0,1]
	v_pk_add_f32 v[50:51], v[48:49], v[50:51]
	v_mov_b32_e32 v52, v166
	v_mov_b32_e32 v53, v169
	v_pk_fma_f32 v[142:143], v[122:123], v[18:19], v[78:79] op_sel:[1,0,1] op_sel_hi:[1,1,0] neg_lo:[0,0,1] neg_hi:[0,0,1]
	v_pk_fma_f32 v[78:79], v[122:123], v[18:19], v[78:79] op_sel:[1,0,1] op_sel_hi:[1,1,0]
	v_pk_fma_f32 v[122:123], v[62:63], v[24:25], v[60:61] op_sel:[0,0,1] op_sel_hi:[1,1,0] neg_lo:[0,0,1] neg_hi:[0,0,1]
	v_pk_fma_f32 v[60:61], v[62:63], v[24:25], v[60:61] op_sel:[0,0,1] op_sel_hi:[0,1,0]
	;; [unrolled: 2-line block ×4, first 2 shown]
	v_mov_b32_e32 v141, v59
	v_pk_add_f32 v[58:59], v[130:131], v[148:149]
	v_pk_add_f32 v[50:51], v[52:53], v[50:51]
	v_pk_mul_f32 v[52:53], v[154:155], s[30:31] op_sel:[1,0] op_sel_hi:[0,0]
	v_mov_b32_e32 v133, v65
	v_mov_b32_e32 v147, v87
	v_pk_fma_f32 v[172:173], v[58:59], s[28:29], v[52:53] op_sel_hi:[1,0,1]
	v_pk_fma_f32 v[174:175], v[58:59], s[28:29], v[52:53] op_sel_hi:[1,0,1] neg_lo:[0,0,1] neg_hi:[0,0,1]
	v_pk_add_f32 v[156:157], v[132:133], v[146:147] neg_lo:[0,1] neg_hi:[0,1]
	v_mov_b32_e32 v52, v172
	v_mov_b32_e32 v53, v175
	;; [unrolled: 1-line block ×3, first 2 shown]
	v_pk_add_f32 v[60:61], v[132:133], v[146:147]
	v_pk_add_f32 v[50:51], v[52:53], v[50:51]
	v_pk_mul_f32 v[52:53], v[156:157], s[44:45] op_sel:[1,0] op_sel_hi:[0,0]
	v_mov_b32_e32 v75, v67
	v_mov_b32_e32 v145, v63
	v_pk_fma_f32 v[176:177], v[60:61], s[22:23], v[52:53] op_sel_hi:[1,0,1]
	v_pk_fma_f32 v[178:179], v[60:61], s[22:23], v[52:53] op_sel_hi:[1,0,1] neg_lo:[0,0,1] neg_hi:[0,0,1]
	v_pk_add_f32 v[158:159], v[74:75], v[144:145] neg_lo:[0,1] neg_hi:[0,1]
	v_mov_b32_e32 v52, v176
	v_mov_b32_e32 v53, v179
	v_pk_add_f32 v[62:63], v[74:75], v[144:145]
	v_pk_add_f32 v[50:51], v[52:53], v[50:51]
	v_pk_mul_f32 v[52:53], v[158:159], s[34:35] op_sel:[1,0] op_sel_hi:[0,0]
	v_mov_b32_e32 v135, v73
	v_pk_fma_f32 v[182:183], v[62:63], s[18:19], v[52:53] op_sel_hi:[1,0,1]
	v_pk_fma_f32 v[184:185], v[62:63], s[18:19], v[52:53] op_sel_hi:[1,0,1] neg_lo:[0,0,1] neg_hi:[0,0,1]
	v_pk_mul_f32 v[90:91], v[120:121], v[12:13] op_sel:[0,1] op_sel_hi:[0,0]
	v_pk_add_f32 v[160:161], v[134:135], v[122:123] neg_lo:[0,1] neg_hi:[0,1]
	v_mov_b32_e32 v52, v182
	v_mov_b32_e32 v53, v185
	v_pk_fma_f32 v[136:137], v[70:71], v[12:13], v[90:91] neg_lo:[0,0,1] neg_hi:[0,0,1]
	v_pk_fma_f32 v[70:71], v[70:71], v[12:13], v[90:91] op_sel_hi:[0,1,1]
	v_pk_add_f32 v[64:65], v[134:135], v[122:123]
	v_pk_add_f32 v[50:51], v[52:53], v[50:51]
	v_pk_mul_f32 v[52:53], v[160:161], s[14:15] op_sel:[1,0] op_sel_hi:[0,0]
	v_mov_b32_e32 v137, v71
	v_mov_b32_e32 v143, v79
	v_pk_fma_f32 v[186:187], v[64:65], s[6:7], v[52:53] op_sel_hi:[1,0,1]
	v_pk_fma_f32 v[188:189], v[64:65], s[6:7], v[52:53] op_sel_hi:[1,0,1] neg_lo:[0,0,1] neg_hi:[0,0,1]
	v_mov_b32_e32 v52, v186
	v_mov_b32_e32 v53, v189
	v_pk_add_f32 v[180:181], v[136:137], v[142:143] neg_lo:[0,1] neg_hi:[0,1]
	v_pk_add_f32 v[50:51], v[52:53], v[50:51]
	s_mov_b32 s30, 0x3dbcf732
	v_pk_add_f32 v[70:71], v[136:137], v[142:143]
	v_pk_mul_f32 v[52:53], v[180:181], s[50:51] op_sel:[1,0] op_sel_hi:[0,0]
	v_pk_fma_f32 v[190:191], v[70:71], s[30:31], v[52:53] op_sel_hi:[1,0,1]
	v_pk_fma_f32 v[192:193], v[70:71], s[30:31], v[52:53] op_sel_hi:[1,0,1] neg_lo:[0,0,1] neg_hi:[0,0,1]
	v_mov_b32_e32 v52, v190
	v_mov_b32_e32 v53, v193
	v_pk_add_f32 v[50:51], v[52:53], v[50:51]
	v_pk_mul_f32 v[52:53], v[150:151], s[50:51] op_sel:[1,0] op_sel_hi:[0,0]
	v_pk_fma_f32 v[194:195], v[54:55], s[30:31], v[52:53] op_sel_hi:[1,0,1]
	v_pk_fma_f32 v[196:197], v[54:55], s[30:31], v[52:53] op_sel_hi:[1,0,1] neg_lo:[0,0,1] neg_hi:[0,0,1]
	v_pk_mul_f32 v[66:67], v[152:153], s[38:39] op_sel:[1,0] op_sel_hi:[0,0]
	v_mov_b32_e32 v52, v194
	v_mov_b32_e32 v53, v197
	v_pk_fma_f32 v[198:199], v[56:57], s[28:29], v[66:67] op_sel_hi:[1,0,1]
	v_pk_fma_f32 v[200:201], v[56:57], s[28:29], v[66:67] op_sel_hi:[1,0,1] neg_lo:[0,0,1] neg_hi:[0,0,1]
	v_pk_add_f32 v[52:53], v[48:49], v[52:53]
	v_mov_b32_e32 v66, v198
	v_mov_b32_e32 v67, v201
	v_pk_add_f32 v[52:53], v[66:67], v[52:53]
	v_pk_mul_f32 v[66:67], v[154:155], s[44:45] op_sel:[1,0] op_sel_hi:[0,0]
	v_pk_fma_f32 v[202:203], v[58:59], s[22:23], v[66:67] op_sel_hi:[1,0,1]
	v_pk_fma_f32 v[204:205], v[58:59], s[22:23], v[66:67] op_sel_hi:[1,0,1] neg_lo:[0,0,1] neg_hi:[0,0,1]
	v_mov_b32_e32 v66, v202
	v_mov_b32_e32 v67, v205
	v_pk_add_f32 v[52:53], v[66:67], v[52:53]
	v_pk_mul_f32 v[66:67], v[156:157], s[46:47] op_sel:[1,0] op_sel_hi:[0,0]
	v_pk_fma_f32 v[206:207], v[60:61], s[6:7], v[66:67] op_sel_hi:[1,0,1]
	v_pk_fma_f32 v[208:209], v[60:61], s[6:7], v[66:67] op_sel_hi:[1,0,1] neg_lo:[0,0,1] neg_hi:[0,0,1]
	;; [unrolled: 6-line block ×5, first 2 shown]
	v_mov_b32_e32 v66, v218
	v_mov_b32_e32 v67, v221
	v_pk_add_f32 v[238:239], v[138:139], v[140:141] neg_lo:[0,1] neg_hi:[0,1]
	v_pk_add_f32 v[66:67], v[66:67], v[52:53]
	v_pk_add_f32 v[72:73], v[138:139], v[140:141]
	v_pk_mul_f32 v[52:53], v[238:239], s[48:49] op_sel:[1,0] op_sel_hi:[0,0]
	v_pk_fma_f32 v[226:227], v[72:73], s[42:43], v[52:53] op_sel_hi:[1,0,1]
	v_pk_fma_f32 v[228:229], v[72:73], s[42:43], v[52:53] op_sel_hi:[1,0,1] neg_lo:[0,0,1] neg_hi:[0,0,1]
	v_mov_b32_e32 v52, v226
	v_mov_b32_e32 v53, v229
	v_pk_add_f32 v[52:53], v[52:53], v[50:51]
	v_pk_mul_f32 v[50:51], v[238:239], s[34:35] op_sel:[1,0] op_sel_hi:[0,0]
	v_pk_fma_f32 v[222:223], v[72:73], s[18:19], v[50:51] op_sel_hi:[1,0,1]
	v_pk_fma_f32 v[224:225], v[72:73], s[18:19], v[50:51] op_sel_hi:[1,0,1] neg_lo:[0,0,1] neg_hi:[0,0,1]
	v_mov_b32_e32 v50, v222
	v_mov_b32_e32 v51, v225
	v_pk_add_f32 v[50:51], v[50:51], v[66:67]
	v_pk_mul_f32 v[66:67], v[150:151], s[14:15] op_sel:[1,0] op_sel_hi:[0,0]
	v_pk_fma_f32 v[230:231], v[54:55], s[6:7], v[66:67] op_sel_hi:[1,0,1]
	v_pk_fma_f32 v[232:233], v[54:55], s[6:7], v[66:67] op_sel_hi:[1,0,1] neg_lo:[0,0,1] neg_hi:[0,0,1]
	v_pk_mul_f32 v[78:79], v[152:153], s[56:57] op_sel:[1,0] op_sel_hi:[0,0]
	v_mov_b32_e32 v66, v230
	v_mov_b32_e32 v67, v233
	v_pk_fma_f32 v[234:235], v[56:57], s[18:19], v[78:79] op_sel_hi:[1,0,1]
	v_pk_fma_f32 v[236:237], v[56:57], s[18:19], v[78:79] op_sel_hi:[1,0,1] neg_lo:[0,0,1] neg_hi:[0,0,1]
	v_pk_add_f32 v[66:67], v[48:49], v[66:67]
	v_mov_b32_e32 v78, v234
	v_mov_b32_e32 v79, v237
	v_pk_add_f32 v[66:67], v[78:79], v[66:67]
	v_pk_mul_f32 v[78:79], v[154:155], s[36:37] op_sel:[1,0] op_sel_hi:[0,0]
	v_pk_fma_f32 v[240:241], v[58:59], s[20:21], v[78:79] op_sel_hi:[1,0,1]
	v_pk_fma_f32 v[242:243], v[58:59], s[20:21], v[78:79] op_sel_hi:[1,0,1] neg_lo:[0,0,1] neg_hi:[0,0,1]
	v_mov_b32_e32 v78, v240
	v_mov_b32_e32 v79, v243
	v_pk_add_f32 v[66:67], v[78:79], v[66:67]
	v_pk_mul_f32 v[78:79], v[156:157], s[50:51] op_sel:[1,0] op_sel_hi:[0,0]
	v_pk_fma_f32 v[244:245], v[60:61], s[30:31], v[78:79] op_sel_hi:[1,0,1]
	v_pk_fma_f32 v[246:247], v[60:61], s[30:31], v[78:79] op_sel_hi:[1,0,1] neg_lo:[0,0,1] neg_hi:[0,0,1]
	;; [unrolled: 6-line block ×6, first 2 shown]
	v_mov_b32_e32 v86, v84
	v_mov_b32_e32 v87, v83
	v_pk_add_f32 v[66:67], v[86:87], v[66:67]
	v_pk_mul_f32 v[90:91], v[152:153], s[50:51] op_sel:[1,0] op_sel_hi:[0,0]
	v_accvgpr_write_b32 a42, v66
	v_accvgpr_write_b32 a43, v67
	v_pk_mul_f32 v[66:67], v[150:151], s[56:57] op_sel:[1,0] op_sel_hi:[0,0]
	v_pk_fma_f32 v[88:89], v[54:55], s[18:19], v[66:67] op_sel_hi:[1,0,1]
	v_pk_fma_f32 v[86:87], v[54:55], s[18:19], v[66:67] op_sel_hi:[1,0,1] neg_lo:[0,0,1] neg_hi:[0,0,1]
	v_mov_b32_e32 v66, v88
	v_mov_b32_e32 v67, v87
	v_pk_fma_f32 v[96:97], v[56:57], s[30:31], v[90:91] op_sel_hi:[1,0,1]
	v_pk_fma_f32 v[94:95], v[56:57], s[30:31], v[90:91] op_sel_hi:[1,0,1] neg_lo:[0,0,1] neg_hi:[0,0,1]
	v_pk_add_f32 v[66:67], v[48:49], v[66:67]
	v_mov_b32_e32 v90, v96
	v_mov_b32_e32 v91, v95
	v_pk_add_f32 v[66:67], v[90:91], v[66:67]
	v_pk_mul_f32 v[90:91], v[154:155], s[26:27] op_sel:[1,0] op_sel_hi:[0,0]
	v_pk_fma_f32 v[100:101], v[58:59], s[24:25], v[90:91] op_sel_hi:[1,0,1]
	v_pk_fma_f32 v[98:99], v[58:59], s[24:25], v[90:91] op_sel_hi:[1,0,1] neg_lo:[0,0,1] neg_hi:[0,0,1]
	v_mov_b32_e32 v90, v100
	v_mov_b32_e32 v91, v99
	v_accvgpr_write_b32 a40, v102
	v_pk_add_f32 v[66:67], v[90:91], v[66:67]
	v_pk_mul_f32 v[90:91], v[156:157], s[38:39] op_sel:[1,0] op_sel_hi:[0,0]
	v_accvgpr_write_b32 a41, v103
	v_pk_fma_f32 v[118:119], v[60:61], s[28:29], v[90:91] op_sel_hi:[1,0,1]
	v_pk_fma_f32 v[102:103], v[60:61], s[28:29], v[90:91] op_sel_hi:[1,0,1] neg_lo:[0,0,1] neg_hi:[0,0,1]
	v_mov_b32_e32 v90, v118
	v_mov_b32_e32 v91, v103
	v_pk_add_f32 v[66:67], v[90:91], v[66:67]
	v_pk_mul_f32 v[90:91], v[158:159], s[60:61] op_sel:[1,0] op_sel_hi:[0,0]
	v_pk_fma_f32 v[106:107], v[62:63], s[42:43], v[90:91] op_sel_hi:[1,0,1]
	v_pk_fma_f32 v[104:105], v[62:63], s[42:43], v[90:91] op_sel_hi:[1,0,1] neg_lo:[0,0,1] neg_hi:[0,0,1]
	v_mov_b32_e32 v90, v106
	v_mov_b32_e32 v91, v105
	v_pk_add_f32 v[66:67], v[90:91], v[66:67]
	v_pk_mul_f32 v[90:91], v[160:161], s[44:45] op_sel:[1,0] op_sel_hi:[0,0]
	;; [unrolled: 6-line block ×4, first 2 shown]
	v_pk_fma_f32 v[90:91], v[72:73], s[6:7], v[114:115] op_sel_hi:[1,0,1]
	v_pk_fma_f32 v[114:115], v[72:73], s[6:7], v[114:115] op_sel_hi:[1,0,1] neg_lo:[0,0,1] neg_hi:[0,0,1]
	v_mov_b32_e32 v202, v170
	v_mov_b32_e32 v170, v90
	v_mov_b32_e32 v171, v115
	v_pk_add_f32 v[120:121], v[170:171], v[120:121]
	s_and_saveexec_b64 s[40:41], s[0:1]
	s_cbranch_execz .LBB0_13
; %bb.12:
	v_pk_add_f32 v[128:129], v[48:49], v[128:129]
	v_mov_b32_e32 v233, v231
	v_pk_add_f32 v[76:77], v[128:129], v[76:77]
	v_mov_b32_e32 v87, v89
	;; [unrolled: 2-line block ×4, first 2 shown]
	v_pk_add_f32 v[74:75], v[76:77], v[74:75]
	v_pk_add_f32 v[76:77], v[48:49], v[86:87]
	;; [unrolled: 1-line block ×3, first 2 shown]
	v_mov_b32_e32 v243, v241
	v_pk_add_f32 v[74:75], v[74:75], v[136:137]
	v_pk_add_f32 v[76:77], v[94:95], v[76:77]
	v_pk_add_f32 v[74:75], v[74:75], v[138:139]
	v_mov_b32_e32 v99, v101
	v_pk_add_f32 v[74:75], v[74:75], v[140:141]
	v_mov_b32_e32 v247, v245
	v_pk_add_f32 v[74:75], v[74:75], v[142:143]
	v_pk_add_f32 v[76:77], v[98:99], v[76:77]
	v_pk_add_f32 v[74:75], v[74:75], v[122:123]
	v_mov_b32_e32 v103, v119
	v_pk_add_f32 v[74:75], v[74:75], v[144:145]
	;; [unrolled: 6-line block ×3, first 2 shown]
	v_accvgpr_read_b32 v67, a13
	v_pk_add_f32 v[74:75], v[74:75], v[126:127]
	ds_write_b64 v112, v[74:75]
	v_pk_add_f32 v[74:75], v[48:49], v[232:233]
	v_mov_b32_e32 v255, v253
	v_pk_add_f32 v[74:75], v[236:237], v[74:75]
	v_pk_add_f32 v[76:77], v[104:105], v[76:77]
	v_pk_add_f32 v[74:75], v[242:243], v[74:75]
	v_mov_b32_e32 v93, v117
	v_pk_add_f32 v[74:75], v[246:247], v[74:75]
	v_lshl_add_u32 v69, v202, 3, v67
	v_pk_add_f32 v[74:75], v[250:251], v[74:75]
	v_mov_b32_e32 v79, v81
	v_pk_add_f32 v[74:75], v[254:255], v[74:75]
	v_pk_add_f32 v[76:77], v[92:93], v[76:77]
	v_mov_b32_e32 v67, v109
	v_pk_add_f32 v[74:75], v[78:79], v[74:75]
	v_mov_b32_e32 v83, v85
	;; [unrolled: 2-line block ×3, first 2 shown]
	v_pk_add_f32 v[74:75], v[82:83], v[74:75]
	v_pk_add_f32 v[66:67], v[114:115], v[66:67]
	v_mov_b32_e32 v165, v163
	v_mov_b32_e32 v197, v195
	ds_write2_b64 v69, v[74:75], v[66:67] offset0:52 offset1:104
	v_pk_add_f32 v[66:67], v[48:49], v[164:165]
	v_mov_b32_e32 v169, v167
	v_pk_add_f32 v[74:75], v[48:49], v[196:197]
	v_mov_b32_e32 v201, v199
	;; [unrolled: 2-line block ×14, first 2 shown]
	v_mov_b32_e32 v170, v151
	v_mov_b32_e32 v171, v150
	v_pk_add_f32 v[66:67], v[228:229], v[66:67]
	v_pk_add_f32 v[74:75], v[224:225], v[74:75]
	v_mov_b32_e32 v150, v153
	v_mov_b32_e32 v151, v152
	ds_write2_b64 v69, v[66:67], v[74:75] offset0:156 offset1:208
	v_pk_mul_f32 v[66:67], v[170:171], s[52:53] op_sel_hi:[1,0]
	v_mov_b32_e32 v152, v155
	v_mov_b32_e32 v153, v154
	v_pk_mul_f32 v[78:79], v[150:151], s[60:61] op_sel_hi:[1,0]
	v_pk_fma_f32 v[74:75], v[54:55], s[22:23], v[66:67] op_sel_hi:[1,0,1] neg_lo:[0,0,1] neg_hi:[0,0,1]
	v_pk_fma_f32 v[76:77], v[54:55], s[22:23], v[66:67] op_sel_hi:[1,0,1]
	v_mov_b32_e32 v154, v157
	v_mov_b32_e32 v155, v156
	v_pk_mul_f32 v[80:81], v[152:153], s[34:35] op_sel_hi:[1,0]
	v_mov_b32_e32 v66, v74
	v_mov_b32_e32 v67, v77
	v_pk_fma_f32 v[122:123], v[56:57], s[42:43], v[78:79] op_sel_hi:[1,0,1] neg_lo:[0,0,1] neg_hi:[0,0,1]
	v_pk_fma_f32 v[124:125], v[56:57], s[42:43], v[78:79] op_sel_hi:[1,0,1]
	v_mov_b32_e32 v156, v159
	v_mov_b32_e32 v157, v158
	v_pk_mul_f32 v[82:83], v[154:155], s[36:37] op_sel_hi:[1,0]
	v_pk_add_f32 v[66:67], v[48:49], v[66:67]
	v_mov_b32_e32 v78, v122
	v_mov_b32_e32 v79, v125
	v_pk_fma_f32 v[126:127], v[58:59], s[18:19], v[80:81] op_sel_hi:[1,0,1] neg_lo:[0,0,1] neg_hi:[0,0,1]
	v_pk_fma_f32 v[128:129], v[58:59], s[18:19], v[80:81] op_sel_hi:[1,0,1]
	v_mov_b32_e32 v158, v161
	v_mov_b32_e32 v159, v160
	v_pk_mul_f32 v[84:85], v[156:157], s[38:39] op_sel_hi:[1,0]
	s_mov_b32 s36, 0x3f7ee86f
	v_pk_add_f32 v[66:67], v[78:79], v[66:67]
	v_mov_b32_e32 v78, v126
	v_mov_b32_e32 v79, v129
	v_pk_fma_f32 v[130:131], v[60:61], s[20:21], v[82:83] op_sel_hi:[1,0,1] neg_lo:[0,0,1] neg_hi:[0,0,1]
	v_pk_fma_f32 v[132:133], v[60:61], s[20:21], v[82:83] op_sel_hi:[1,0,1]
	v_mov_b32_e32 v160, v181
	v_mov_b32_e32 v161, v180
	v_pk_mul_f32 v[86:87], v[158:159], s[36:37] op_sel_hi:[1,0]
	v_pk_add_f32 v[66:67], v[78:79], v[66:67]
	v_mov_b32_e32 v78, v130
	v_mov_b32_e32 v79, v133
	v_pk_fma_f32 v[134:135], v[62:63], s[28:29], v[84:85] op_sel_hi:[1,0,1] neg_lo:[0,0,1] neg_hi:[0,0,1]
	v_pk_fma_f32 v[136:137], v[62:63], s[28:29], v[84:85] op_sel_hi:[1,0,1]
	v_pk_mul_f32 v[88:89], v[160:161], s[14:15] op_sel_hi:[1,0]
	v_pk_add_f32 v[66:67], v[78:79], v[66:67]
	v_mov_b32_e32 v78, v134
	v_mov_b32_e32 v79, v137
	v_pk_fma_f32 v[138:139], v[64:65], s[30:31], v[86:87] op_sel_hi:[1,0,1] neg_lo:[0,0,1] neg_hi:[0,0,1]
	v_pk_fma_f32 v[140:141], v[64:65], s[30:31], v[86:87] op_sel_hi:[1,0,1]
	v_mov_b32_e32 v180, v239
	v_mov_b32_e32 v181, v238
	v_pk_add_f32 v[66:67], v[78:79], v[66:67]
	v_mov_b32_e32 v78, v138
	v_mov_b32_e32 v79, v141
	v_pk_fma_f32 v[142:143], v[70:71], s[6:7], v[88:89] op_sel_hi:[1,0,1] neg_lo:[0,0,1] neg_hi:[0,0,1]
	v_pk_fma_f32 v[144:145], v[70:71], s[6:7], v[88:89] op_sel_hi:[1,0,1]
	v_pk_mul_f32 v[90:91], v[180:181], s[26:27] op_sel_hi:[1,0]
	v_pk_add_f32 v[66:67], v[78:79], v[66:67]
	v_mov_b32_e32 v78, v142
	v_mov_b32_e32 v79, v145
	v_pk_add_f32 v[66:67], v[78:79], v[66:67]
	v_pk_fma_f32 v[78:79], v[72:73], s[24:25], v[90:91] op_sel_hi:[1,0,1] neg_lo:[0,0,1] neg_hi:[0,0,1]
	v_pk_fma_f32 v[80:81], v[72:73], s[24:25], v[90:91] op_sel_hi:[1,0,1]
	v_mov_b32_e32 v82, v78
	v_mov_b32_e32 v83, v81
	v_pk_add_f32 v[66:67], v[82:83], v[66:67]
	v_pk_mul_f32 v[82:83], v[170:171], s[26:27] op_sel_hi:[1,0]
	v_pk_mul_f32 v[88:89], v[150:151], s[44:45] op_sel_hi:[1,0]
	v_pk_fma_f32 v[84:85], v[54:55], s[24:25], v[82:83] op_sel_hi:[1,0,1] neg_lo:[0,0,1] neg_hi:[0,0,1]
	v_pk_fma_f32 v[82:83], v[54:55], s[24:25], v[82:83] op_sel_hi:[1,0,1]
	v_mov_b32_e32 v86, v84
	v_mov_b32_e32 v87, v83
	v_pk_fma_f32 v[90:91], v[56:57], s[22:23], v[88:89] op_sel_hi:[1,0,1] neg_lo:[0,0,1] neg_hi:[0,0,1]
	v_pk_fma_f32 v[88:89], v[56:57], s[22:23], v[88:89] op_sel_hi:[1,0,1]
	v_pk_add_f32 v[86:87], v[48:49], v[86:87]
	v_mov_b32_e32 v92, v90
	v_mov_b32_e32 v93, v89
	v_pk_add_f32 v[86:87], v[92:93], v[86:87]
	v_pk_mul_f32 v[92:93], v[152:153], s[14:15] op_sel_hi:[1,0]
	v_add_u32_e32 v74, 0x800, v69
	v_pk_fma_f32 v[94:95], v[58:59], s[6:7], v[92:93] op_sel_hi:[1,0,1] neg_lo:[0,0,1] neg_hi:[0,0,1]
	v_pk_fma_f32 v[92:93], v[58:59], s[6:7], v[92:93] op_sel_hi:[1,0,1]
	v_mov_b32_e32 v96, v94
	v_mov_b32_e32 v97, v93
	v_pk_add_f32 v[86:87], v[96:97], v[86:87]
	v_pk_mul_f32 v[96:97], v[154:155], s[48:49] op_sel_hi:[1,0]
	v_pk_mul_f32 v[148:149], v[154:155], s[54:55] op_sel_hi:[1,0]
	v_pk_fma_f32 v[98:99], v[60:61], s[42:43], v[96:97] op_sel_hi:[1,0,1] neg_lo:[0,0,1] neg_hi:[0,0,1]
	v_pk_fma_f32 v[96:97], v[60:61], s[42:43], v[96:97] op_sel_hi:[1,0,1]
	v_mov_b32_e32 v100, v98
	v_mov_b32_e32 v101, v97
	v_pk_add_f32 v[86:87], v[100:101], v[86:87]
	v_pk_mul_f32 v[100:101], v[156:157], s[36:37] op_sel_hi:[1,0]
	v_pk_mul_f32 v[162:163], v[156:157], s[14:15] op_sel_hi:[1,0]
	;; [unrolled: 7-line block ×5, first 2 shown]
	v_pk_fma_f32 v[118:119], v[72:73], s[20:21], v[116:117] op_sel_hi:[1,0,1] neg_lo:[0,0,1] neg_hi:[0,0,1]
	v_pk_fma_f32 v[116:117], v[72:73], s[20:21], v[116:117] op_sel_hi:[1,0,1]
	v_mov_b32_e32 v146, v118
	v_mov_b32_e32 v147, v117
	v_pk_add_f32 v[86:87], v[146:147], v[86:87]
	ds_write2_b64 v74, v[66:67], v[86:87] offset0:4 offset1:56
	v_pk_mul_f32 v[66:67], v[170:171], s[48:49] op_sel_hi:[1,0]
	v_pk_mul_f32 v[86:87], v[150:151], s[58:59] op_sel_hi:[1,0]
	v_pk_fma_f32 v[172:173], v[54:55], s[42:43], v[66:67] op_sel_hi:[1,0,1] neg_lo:[0,0,1] neg_hi:[0,0,1]
	v_pk_fma_f32 v[66:67], v[54:55], s[42:43], v[66:67] op_sel_hi:[1,0,1]
	v_mov_b32_e32 v174, v172
	v_mov_b32_e32 v175, v67
	v_pk_fma_f32 v[176:177], v[56:57], s[20:21], v[86:87] op_sel_hi:[1,0,1] neg_lo:[0,0,1] neg_hi:[0,0,1]
	v_pk_fma_f32 v[86:87], v[56:57], s[20:21], v[86:87] op_sel_hi:[1,0,1]
	v_pk_mul_f32 v[146:147], v[152:153], s[50:51] op_sel_hi:[1,0]
	v_pk_add_f32 v[174:175], v[48:49], v[174:175]
	v_mov_b32_e32 v178, v176
	v_mov_b32_e32 v179, v87
	v_pk_add_f32 v[174:175], v[178:179], v[174:175]
	v_pk_fma_f32 v[178:179], v[58:59], s[30:31], v[146:147] op_sel_hi:[1,0,1] neg_lo:[0,0,1] neg_hi:[0,0,1]
	v_pk_fma_f32 v[146:147], v[58:59], s[30:31], v[146:147] op_sel_hi:[1,0,1]
	v_mov_b32_e32 v182, v178
	v_mov_b32_e32 v183, v147
	v_pk_add_f32 v[174:175], v[182:183], v[174:175]
	v_pk_fma_f32 v[182:183], v[60:61], s[24:25], v[148:149] op_sel_hi:[1,0,1] neg_lo:[0,0,1] neg_hi:[0,0,1]
	v_pk_fma_f32 v[148:149], v[60:61], s[24:25], v[148:149] op_sel_hi:[1,0,1]
	;; [unrolled: 5-line block ×6, first 2 shown]
	v_mov_b32_e32 v192, v190
	v_mov_b32_e32 v193, v169
	v_pk_mul_f32 v[170:171], v[170:171], s[38:39] op_sel_hi:[1,0]
	v_pk_add_f32 v[174:175], v[192:193], v[174:175]
	v_pk_mul_f32 v[150:151], v[150:151], s[46:47] op_sel_hi:[1,0]
	v_pk_fma_f32 v[192:193], v[54:55], s[28:29], v[170:171] op_sel_hi:[1,0,1] neg_lo:[0,0,1] neg_hi:[0,0,1]
	v_pk_fma_f32 v[54:55], v[54:55], s[28:29], v[170:171] op_sel_hi:[1,0,1]
	v_mov_b32_e32 v170, v192
	v_mov_b32_e32 v171, v55
	v_pk_fma_f32 v[194:195], v[56:57], s[6:7], v[150:151] op_sel_hi:[1,0,1] neg_lo:[0,0,1] neg_hi:[0,0,1]
	v_pk_fma_f32 v[56:57], v[56:57], s[6:7], v[150:151] op_sel_hi:[1,0,1]
	v_pk_mul_f32 v[152:153], v[152:153], s[48:49] op_sel_hi:[1,0]
	v_pk_add_f32 v[170:171], v[48:49], v[170:171]
	v_mov_b32_e32 v150, v194
	v_mov_b32_e32 v151, v57
	v_pk_add_f32 v[150:151], v[150:151], v[170:171]
	v_pk_fma_f32 v[170:171], v[58:59], s[42:43], v[152:153] op_sel_hi:[1,0,1] neg_lo:[0,0,1] neg_hi:[0,0,1]
	v_pk_fma_f32 v[58:59], v[58:59], s[42:43], v[152:153] op_sel_hi:[1,0,1]
	v_pk_mul_f32 v[154:155], v[154:155], s[34:35] op_sel_hi:[1,0]
	v_mov_b32_e32 v152, v170
	v_mov_b32_e32 v153, v59
	v_pk_add_f32 v[150:151], v[152:153], v[150:151]
	v_pk_fma_f32 v[152:153], v[60:61], s[18:19], v[154:155] op_sel_hi:[1,0,1] neg_lo:[0,0,1] neg_hi:[0,0,1]
	v_pk_fma_f32 v[60:61], v[60:61], s[18:19], v[154:155] op_sel_hi:[1,0,1]
	v_pk_mul_f32 v[156:157], v[156:157], s[26:27] op_sel_hi:[1,0]
	v_mov_b32_e32 v154, v152
	v_mov_b32_e32 v155, v61
	;; [unrolled: 1-line block ×3, first 2 shown]
	v_pk_add_f32 v[150:151], v[154:155], v[150:151]
	v_pk_fma_f32 v[154:155], v[62:63], s[24:25], v[156:157] op_sel_hi:[1,0,1] neg_lo:[0,0,1] neg_hi:[0,0,1]
	v_pk_fma_f32 v[62:63], v[62:63], s[24:25], v[156:157] op_sel_hi:[1,0,1]
	v_pk_add_f32 v[54:55], v[48:49], v[54:55]
	v_mov_b32_e32 v57, v195
	v_mov_b32_e32 v67, v173
	v_pk_mul_f32 v[158:159], v[158:159], s[58:59] op_sel_hi:[1,0]
	v_mov_b32_e32 v156, v154
	v_mov_b32_e32 v157, v63
	v_pk_add_f32 v[54:55], v[56:57], v[54:55]
	v_pk_add_f32 v[56:57], v[48:49], v[66:67]
	v_mov_b32_e32 v87, v177
	v_pk_add_f32 v[150:151], v[156:157], v[150:151]
	v_pk_fma_f32 v[156:157], v[64:65], s[20:21], v[158:159] op_sel_hi:[1,0,1] neg_lo:[0,0,1] neg_hi:[0,0,1]
	v_pk_fma_f32 v[64:65], v[64:65], s[20:21], v[158:159] op_sel_hi:[1,0,1]
	v_mov_b32_e32 v59, v171
	v_pk_add_f32 v[56:57], v[86:87], v[56:57]
	v_mov_b32_e32 v147, v179
	v_pk_mul_f32 v[160:161], v[160:161], s[52:53] op_sel_hi:[1,0]
	v_mov_b32_e32 v158, v156
	v_mov_b32_e32 v159, v65
	v_pk_add_f32 v[54:55], v[58:59], v[54:55]
	v_mov_b32_e32 v61, v153
	v_pk_add_f32 v[56:57], v[146:147], v[56:57]
	;; [unrolled: 2-line block ×3, first 2 shown]
	v_pk_fma_f32 v[158:159], v[70:71], s[22:23], v[160:161] op_sel_hi:[1,0,1] neg_lo:[0,0,1] neg_hi:[0,0,1]
	v_pk_fma_f32 v[70:71], v[70:71], s[22:23], v[160:161] op_sel_hi:[1,0,1]
	v_pk_add_f32 v[54:55], v[60:61], v[54:55]
	v_mov_b32_e32 v63, v155
	v_pk_add_f32 v[56:57], v[148:149], v[56:57]
	v_mov_b32_e32 v163, v185
	v_pk_mul_f32 v[180:181], v[180:181], s[36:37] op_sel_hi:[1,0]
	v_mov_b32_e32 v160, v158
	v_mov_b32_e32 v161, v71
	v_pk_add_f32 v[54:55], v[62:63], v[54:55]
	v_mov_b32_e32 v65, v157
	v_pk_add_f32 v[56:57], v[162:163], v[56:57]
	;; [unrolled: 2-line block ×3, first 2 shown]
	v_pk_fma_f32 v[160:161], v[72:73], s[30:31], v[180:181] op_sel_hi:[1,0,1] neg_lo:[0,0,1] neg_hi:[0,0,1]
	v_pk_fma_f32 v[72:73], v[72:73], s[30:31], v[180:181] op_sel_hi:[1,0,1]
	v_pk_add_f32 v[54:55], v[64:65], v[54:55]
	v_mov_b32_e32 v71, v159
	v_pk_add_f32 v[56:57], v[164:165], v[56:57]
	v_mov_b32_e32 v167, v189
	v_mov_b32_e32 v181, v73
	v_pk_add_f32 v[54:55], v[70:71], v[54:55]
	v_mov_b32_e32 v73, v161
	v_pk_add_f32 v[56:57], v[166:167], v[56:57]
	;; [unrolled: 2-line block ×3, first 2 shown]
	v_pk_add_f32 v[56:57], v[168:169], v[56:57]
	v_add_u32_e32 v58, 0xc00, v69
	v_mov_b32_e32 v83, v85
	v_mov_b32_e32 v77, v75
	ds_write2_b64 v58, v[54:55], v[56:57] offset0:84 offset1:136
	v_pk_add_f32 v[54:55], v[48:49], v[82:83]
	v_mov_b32_e32 v89, v91
	v_pk_add_f32 v[48:49], v[48:49], v[76:77]
	v_mov_b32_e32 v125, v123
	;; [unrolled: 2-line block ×12, first 2 shown]
	v_mov_b32_e32 v180, v160
	v_pk_add_f32 v[54:55], v[108:109], v[54:55]
	v_mov_b32_e32 v117, v119
	v_pk_add_f32 v[48:49], v[144:145], v[48:49]
	;; [unrolled: 2-line block ×3, first 2 shown]
	v_pk_add_f32 v[54:55], v[116:117], v[54:55]
	v_pk_add_f32 v[48:49], v[80:81], v[48:49]
	v_add_u32_e32 v56, 0x1000, v69
	ds_write2_b64 v74, v[174:175], v[150:151] offset0:108 offset1:160
	ds_write2_b64 v56, v[54:55], v[48:49] offset0:60 offset1:112
	;; [unrolled: 1-line block ×3, first 2 shown]
	v_accvgpr_read_b32 v55, a43
	v_add_u32_e32 v48, 0x1800, v69
	v_accvgpr_read_b32 v54, a42
	ds_write2_b64 v48, v[120:121], v[54:55] offset0:12 offset1:64
.LBB0_13:
	s_or_b64 exec, exec, s[40:41]
	v_accvgpr_read_b32 v69, a39
	v_lshl_add_u64 v[48:49], s[12:13], 0, v[68:69]
	s_movk_i32 s6, 0x1000
	v_add_co_u32_e64 v54, s[6:7], s6, v48
	s_waitcnt lgkmcnt(0)
	s_nop 0
	v_addc_co_u32_e64 v55, s[6:7], 0, v49, s[6:7]
	s_barrier
	s_mov_b64 s[12:13], 0x1ba0
	global_load_dwordx2 v[70:71], v[54:55], off offset:2976
	v_lshl_add_u64 v[54:55], v[48:49], 0, s[12:13]
	global_load_dwordx2 v[72:73], v[54:55], off offset:544
	global_load_dwordx2 v[74:75], v[54:55], off offset:1088
	;; [unrolled: 1-line block ×7, first 2 shown]
	s_movk_i32 s6, 0x2000
	v_add_co_u32_e64 v54, s[6:7], s6, v48
	v_mov_b32_e32 v122, v22
	s_nop 0
	v_addc_co_u32_e64 v55, s[6:7], 0, v49, s[6:7]
	global_load_dwordx2 v[88:89], v[54:55], off offset:3232
	global_load_dwordx2 v[90:91], v[54:55], off offset:3776
	s_movk_i32 s6, 0x3000
	v_add_co_u32_e64 v48, s[6:7], s6, v48
	v_mov_b32_e32 v123, v22
	s_nop 0
	v_addc_co_u32_e64 v49, s[6:7], 0, v49, s[6:7]
	global_load_dwordx2 v[92:93], v[48:49], off offset:224
	global_load_dwordx2 v[94:95], v[48:49], off offset:768
	s_nop 0
	global_load_dwordx2 v[48:49], v[48:49], off offset:1312
	ds_read2_b64 v[54:57], v112 offset1:68
	v_add_u32_e32 v81, 0x400, v112
	v_accvgpr_read_b32 v22, a13
	v_lshl_add_u32 v80, v202, 3, v22
	v_add_u32_e32 v22, 0x800, v112
	v_add_u32_e32 v100, 0xc00, v112
	ds_read2_b64 v[58:61], v81 offset0:8 offset1:144
	ds_read_b64 v[96:97], v80 offset:1632
	ds_read2_b64 v[62:65], v22 offset0:84 offset1:152
	ds_read2_b64 v[66:69], v100 offset0:92 offset1:160
	s_mov_b32 s42, 0xbeedf032
	s_mov_b32 s28, 0xbf52af12
	;; [unrolled: 1-line block ×18, first 2 shown]
	v_mov_b32_e32 v124, v20
	v_mov_b32_e32 v125, v20
	;; [unrolled: 1-line block ×3, first 2 shown]
	s_waitcnt vmcnt(11) lgkmcnt(4)
	v_mul_f32_e32 v101, v57, v73
	s_waitcnt vmcnt(10) lgkmcnt(3)
	v_mul_f32_e32 v102, v59, v75
	;; [unrolled: 2-line block ×3, first 2 shown]
	s_waitcnt vmcnt(8)
	v_mul_f32_e32 v104, v61, v79
	v_mul_f32_e32 v98, v55, v71
	;; [unrolled: 1-line block ×7, first 2 shown]
	s_waitcnt vmcnt(7) lgkmcnt(1)
	v_mul_f32_e32 v105, v63, v83
	v_mul_f32_e32 v79, v62, v83
	s_waitcnt vmcnt(6)
	v_mul_f32_e32 v106, v65, v85
	v_mul_f32_e32 v83, v64, v85
	v_fma_f32 v98, v54, v70, -v98
	v_fmac_f32_e32 v99, v55, v70
	v_fma_f32 v70, v56, v72, -v101
	v_fmac_f32_e32 v71, v57, v72
	;; [unrolled: 2-line block ×7, first 2 shown]
	ds_write2_b64 v112, v[98:99], v[70:71] offset1:68
	ds_write_b64 v80, v[74:75] offset:1632
	ds_write2_b64 v81, v[72:73], v[76:77] offset0:8 offset1:144
	ds_write2_b64 v22, v[78:79], v[82:83] offset0:84 offset1:152
	v_add_u32_e32 v78, 0x1000, v112
	ds_read2_b64 v[54:57], v78 offset0:100 offset1:168
	s_waitcnt vmcnt(5) lgkmcnt(5)
	v_mul_f32_e32 v107, v67, v87
	v_mul_f32_e32 v85, v66, v87
	s_waitcnt vmcnt(4)
	v_mul_f32_e32 v58, v69, v89
	v_mul_f32_e32 v59, v68, v89
	v_fma_f32 v84, v66, v86, -v107
	v_fmac_f32_e32 v85, v67, v86
	v_fma_f32 v58, v68, v88, -v58
	v_fmac_f32_e32 v59, v69, v88
	ds_write2_b64 v100, v[84:85], v[58:59] offset0:92 offset1:160
	s_waitcnt vmcnt(3) lgkmcnt(1)
	v_mul_f32_e32 v58, v55, v91
	v_add_u32_e32 v79, 0x1400, v112
	v_fma_f32 v62, v54, v90, -v58
	ds_read2_b64 v[58:61], v79 offset0:108 offset1:176
	v_mul_f32_e32 v63, v54, v91
	v_fmac_f32_e32 v63, v55, v90
	s_waitcnt vmcnt(2)
	v_mul_f32_e32 v54, v57, v93
	v_mul_f32_e32 v55, v56, v93
	v_fma_f32 v54, v56, v92, -v54
	v_fmac_f32_e32 v55, v57, v92
	ds_write2_b64 v78, v[62:63], v[54:55] offset0:100 offset1:168
	s_waitcnt vmcnt(1) lgkmcnt(1)
	v_mul_f32_e32 v54, v59, v95
	v_mul_f32_e32 v55, v58, v95
	s_waitcnt vmcnt(0)
	v_mul_f32_e32 v56, v61, v49
	v_mul_f32_e32 v57, v60, v49
	v_fma_f32 v54, v58, v94, -v54
	v_fmac_f32_e32 v55, v59, v94
	v_fma_f32 v56, v60, v48, -v56
	v_fmac_f32_e32 v57, v61, v48
	ds_write2_b64 v79, v[54:55], v[56:57] offset0:108 offset1:176
	s_waitcnt lgkmcnt(0)
	s_barrier
	ds_read2_b64 v[54:57], v112 offset1:68
	ds_read_b64 v[102:103], v80 offset:1632
	ds_read2_b64 v[82:85], v81 offset0:8 offset1:144
	ds_read2_b64 v[86:89], v79 offset0:108 offset1:176
	;; [unrolled: 1-line block ×5, first 2 shown]
	s_waitcnt lgkmcnt(6)
	v_pk_add_f32 v[104:105], v[54:55], v[56:57]
	s_waitcnt lgkmcnt(3)
	v_pk_add_f32 v[128:129], v[86:87], v[82:83]
	v_pk_add_f32 v[130:131], v[82:83], v[86:87] neg_lo:[0,1] neg_hi:[0,1]
	v_pk_add_f32 v[82:83], v[104:105], v[82:83]
	v_pk_add_f32 v[74:75], v[88:89], v[56:57]
	;; [unrolled: 1-line block ×3, first 2 shown]
	v_pk_add_f32 v[76:77], v[56:57], v[88:89] neg_lo:[0,1] neg_hi:[0,1]
	v_pk_add_f32 v[82:83], v[82:83], v[84:85]
	v_pk_mul_f32 v[48:49], v[76:77], s[28:29] op_sel_hi:[1,0]
	s_waitcnt lgkmcnt(2)
	v_pk_add_f32 v[82:83], v[82:83], v[90:91]
	v_pk_fma_f32 v[56:57], v[74:75], s[6:7], v[48:49] op_sel:[0,0,1] op_sel_hi:[1,0,0]
	v_pk_add_f32 v[82:83], v[82:83], v[92:93]
	v_pk_fma_f32 v[48:49], v[74:75], s[6:7], v[48:49] op_sel:[0,0,1] op_sel_hi:[1,0,0] neg_lo:[0,0,1] neg_hi:[0,0,1]
	s_waitcnt lgkmcnt(1)
	v_pk_add_f32 v[82:83], v[82:83], v[94:95]
	s_waitcnt lgkmcnt(0)
	v_pk_add_f32 v[136:137], v[98:99], v[84:85]
	v_pk_add_f32 v[82:83], v[82:83], v[96:97]
	v_pk_add_f32 v[138:139], v[84:85], v[98:99] neg_lo:[0,1] neg_hi:[0,1]
	v_pk_add_f32 v[82:83], v[82:83], v[98:99]
	v_pk_add_f32 v[140:141], v[96:97], v[90:91]
	v_pk_add_f32 v[82:83], v[82:83], v[100:101]
	v_pk_add_f32 v[148:149], v[90:91], v[96:97] neg_lo:[0,1] neg_hi:[0,1]
	v_pk_add_f32 v[82:83], v[82:83], v[86:87]
	v_mov_b32_e32 v86, v74
	v_mov_b32_e32 v87, v76
	;; [unrolled: 1-line block ×4, first 2 shown]
	v_pk_mul_f32 v[86:87], v[86:87], s[34:35]
	v_mov_b32_e32 v96, v128
	v_mov_b32_e32 v97, v130
	s_mov_b32 s7, s28
	v_pk_add_f32 v[142:143], v[94:95], v[92:93]
	v_pk_add_f32 v[150:151], v[92:93], v[94:95] neg_lo:[0,1] neg_hi:[0,1]
	v_pk_add_f32 v[82:83], v[82:83], v[88:89]
	v_pk_fma_f32 v[88:89], v[84:85], s[42:43], v[86:87] neg_lo:[1,0,0] neg_hi:[1,0,0]
	v_pk_fma_f32 v[90:91], v[84:85], s[42:43], v[86:87]
	v_mov_b32_e32 v94, v131
	v_mov_b32_e32 v95, v129
	s_mov_b32 s29, s6
	v_pk_mul_f32 v[96:97], v[96:97], s[6:7]
	v_pk_add_f32 v[132:133], v[100:101], v[102:103]
	v_pk_add_f32 v[134:135], v[102:103], v[100:101] neg_lo:[0,1] neg_hi:[0,1]
	v_pk_mul_f32 v[70:71], v[148:149], s[20:21] op_sel_hi:[1,0]
	v_mov_b32_e32 v89, v91
	v_pk_fma_f32 v[98:99], v[94:95], s[28:29], v[96:97] neg_lo:[1,0,0] neg_hi:[1,0,0]
	v_pk_fma_f32 v[100:101], v[94:95], s[28:29], v[96:97]
	v_pk_mul_f32 v[58:59], v[130:131], s[14:15] op_sel_hi:[1,0]
	v_pk_fma_f32 v[72:73], v[140:141], s[18:19], v[70:71] op_sel:[0,0,1] op_sel_hi:[1,0,0]
	v_pk_fma_f32 v[70:71], v[140:141], s[18:19], v[70:71] op_sel:[0,0,1] op_sel_hi:[1,0,0] neg_lo:[0,0,1] neg_hi:[0,0,1]
	v_pk_add_f32 v[88:89], v[54:55], v[88:89]
	v_mov_b32_e32 v99, v101
	v_mov_b32_e32 v102, v132
	;; [unrolled: 1-line block ×3, first 2 shown]
	s_mov_b32 s19, s40
	v_mov_b32_e32 v106, v56
	v_mov_b32_e32 v107, v49
	v_pk_fma_f32 v[60:61], v[128:129], s[12:13], v[58:59] op_sel:[0,0,1] op_sel_hi:[1,0,0]
	v_pk_fma_f32 v[58:59], v[128:129], s[12:13], v[58:59] op_sel:[0,0,1] op_sel_hi:[1,0,0] neg_lo:[0,0,1] neg_hi:[0,0,1]
	v_pk_add_f32 v[88:89], v[98:99], v[88:89]
	v_mov_b32_e32 v98, v135
	v_mov_b32_e32 v99, v133
	v_pk_mul_f32 v[102:103], v[102:103], s[18:19]
	v_mov_b32_e32 v108, v60
	v_mov_b32_e32 v109, v59
	v_pk_mul_f32 v[62:63], v[134:135], s[26:27] op_sel_hi:[1,0]
	v_pk_add_f32 v[92:93], v[54:55], v[106:107]
	v_pk_fma_f32 v[104:105], v[98:99], s[40:41], v[102:103] neg_lo:[1,0,0] neg_hi:[1,0,0]
	v_pk_fma_f32 v[106:107], v[98:99], s[40:41], v[102:103]
	v_pk_fma_f32 v[64:65], v[132:133], s[22:23], v[62:63] op_sel:[0,0,1] op_sel_hi:[1,0,0]
	v_pk_fma_f32 v[62:63], v[132:133], s[22:23], v[62:63] op_sel:[0,0,1] op_sel_hi:[1,0,0] neg_lo:[0,0,1] neg_hi:[0,0,1]
	v_pk_mul_f32 v[66:67], v[138:139], s[30:31] op_sel_hi:[1,0]
	v_pk_add_f32 v[92:93], v[108:109], v[92:93]
	v_mov_b32_e32 v105, v107
	v_mov_b32_e32 v108, v136
	;; [unrolled: 1-line block ×3, first 2 shown]
	s_mov_b32 s13, s14
	v_mov_b32_e32 v114, v64
	v_mov_b32_e32 v115, v63
	v_pk_fma_f32 v[68:69], v[136:137], s[24:25], v[66:67] op_sel:[0,0,1] op_sel_hi:[1,0,0]
	v_pk_fma_f32 v[66:67], v[136:137], s[24:25], v[66:67] op_sel:[0,0,1] op_sel_hi:[1,0,0] neg_lo:[0,0,1] neg_hi:[0,0,1]
	v_pk_add_f32 v[88:89], v[104:105], v[88:89]
	v_mov_b32_e32 v104, v139
	v_mov_b32_e32 v105, v137
	s_mov_b32 s15, s12
	v_pk_mul_f32 v[108:109], v[108:109], s[12:13]
	v_mov_b32_e32 v116, v68
	v_mov_b32_e32 v117, v67
	v_pk_add_f32 v[92:93], v[114:115], v[92:93]
	v_pk_fma_f32 v[114:115], v[104:105], s[14:15], v[108:109] neg_lo:[1,0,0] neg_hi:[1,0,0]
	v_pk_fma_f32 v[152:153], v[104:105], s[14:15], v[108:109]
	s_mov_b32 s34, 0xbf29c268
	v_mov_b32_e32 v115, v153
	v_pk_add_f32 v[92:93], v[116:117], v[92:93]
	v_mov_b32_e32 v116, v140
	v_mov_b32_e32 v117, v148
	s_mov_b32 s25, s34
	v_pk_add_f32 v[88:89], v[114:115], v[88:89]
	v_mov_b32_e32 v114, v149
	v_mov_b32_e32 v115, v141
	s_mov_b32 s35, s24
	v_pk_mul_f32 v[116:117], v[116:117], s[24:25]
	v_pk_fma_f32 v[84:85], v[84:85], s[42:43], v[86:87] neg_lo:[0,0,1] neg_hi:[0,0,1]
	v_pk_fma_f32 v[126:127], v[114:115], s[34:35], v[116:117] neg_lo:[1,0,0] neg_hi:[1,0,0]
	v_pk_fma_f32 v[154:155], v[114:115], s[34:35], v[116:117]
	v_mov_b32_e32 v91, v85
	v_pk_fma_f32 v[86:87], v[94:95], s[28:29], v[96:97] neg_lo:[0,0,1] neg_hi:[0,0,1]
	v_mov_b32_e32 v127, v155
	v_pk_add_f32 v[84:85], v[54:55], v[90:91]
	v_mov_b32_e32 v101, v87
	v_pk_fma_f32 v[86:87], v[98:99], s[40:41], v[102:103] neg_lo:[0,0,1] neg_hi:[0,0,1]
	v_mov_b32_e32 v118, v72
	v_mov_b32_e32 v119, v71
	v_pk_add_f32 v[88:89], v[126:127], v[88:89]
	v_mov_b32_e32 v126, v142
	v_mov_b32_e32 v127, v150
	s_mov_b32 s23, s26
	v_pk_add_f32 v[84:85], v[100:101], v[84:85]
	v_mov_b32_e32 v107, v87
	v_pk_fma_f32 v[86:87], v[104:105], s[14:15], v[108:109] neg_lo:[0,0,1] neg_hi:[0,0,1]
	v_pk_add_f32 v[92:93], v[118:119], v[92:93]
	v_mov_b32_e32 v118, v151
	v_mov_b32_e32 v119, v143
	s_mov_b32 s27, s22
	v_pk_mul_f32 v[156:157], v[126:127], s[22:23]
	v_pk_add_f32 v[84:85], v[106:107], v[84:85]
	v_mov_b32_e32 v153, v87
	v_pk_fma_f32 v[86:87], v[114:115], s[34:35], v[116:117] neg_lo:[0,0,1] neg_hi:[0,0,1]
	v_pk_fma_f32 v[126:127], v[118:119], s[26:27], v[156:157] neg_lo:[1,0,0] neg_hi:[1,0,0]
	v_pk_fma_f32 v[158:159], v[118:119], s[26:27], v[156:157]
	v_pk_add_f32 v[84:85], v[152:153], v[84:85]
	v_mov_b32_e32 v155, v87
	v_pk_fma_f32 v[86:87], v[118:119], s[26:27], v[156:157] neg_lo:[0,0,1] neg_hi:[0,0,1]
	v_mov_b32_e32 v127, v159
	v_pk_add_f32 v[84:85], v[154:155], v[84:85]
	v_mov_b32_e32 v159, v87
	v_pk_add_f32 v[126:127], v[126:127], v[88:89]
	v_pk_mul_f32 v[88:89], v[150:151], s[38:39] op_sel_hi:[1,0]
	v_pk_add_f32 v[84:85], v[158:159], v[84:85]
	v_pk_fma_f32 v[144:145], v[142:143], s[36:37], v[88:89] op_sel:[0,0,1] op_sel_hi:[1,0,0]
	v_pk_fma_f32 v[146:147], v[142:143], s[36:37], v[88:89] op_sel:[0,0,1] op_sel_hi:[1,0,0] neg_lo:[0,0,1] neg_hi:[0,0,1]
	s_barrier
	ds_write2_b64 v113, v[82:83], v[84:85] offset1:1
	v_pk_mul_f32 v[82:83], v[76:77], s[40:41] op_sel_hi:[1,0]
	v_mov_b32_e32 v88, v144
	v_mov_b32_e32 v89, v147
	v_pk_fma_f32 v[84:85], v[74:75], s[18:19], v[82:83] op_sel:[0,0,1] op_sel_hi:[1,0,0]
	v_pk_fma_f32 v[82:83], v[74:75], s[18:19], v[82:83] op_sel:[0,0,1] op_sel_hi:[1,0,0] neg_lo:[0,0,1] neg_hi:[0,0,1]
	v_pk_mul_f32 v[90:91], v[130:131], s[26:27] op_sel_hi:[1,0]
	s_mov_b32 s42, 0x3f6f5d39
	v_pk_add_f32 v[88:89], v[88:89], v[92:93]
	v_mov_b32_e32 v86, v84
	v_mov_b32_e32 v87, v83
	v_pk_fma_f32 v[92:93], v[128:129], s[22:23], v[90:91] op_sel:[0,0,1] op_sel_hi:[1,0,0]
	v_pk_fma_f32 v[90:91], v[128:129], s[22:23], v[90:91] op_sel:[0,0,1] op_sel_hi:[1,0,0] neg_lo:[0,0,1] neg_hi:[0,0,1]
	v_pk_mul_f32 v[96:97], v[134:135], s[42:43] op_sel_hi:[1,0]
	v_mov_b32_e32 v94, v92
	v_mov_b32_e32 v95, v91
	v_pk_fma_f32 v[98:99], v[132:133], s[12:13], v[96:97] op_sel:[0,0,1] op_sel_hi:[1,0,0]
	v_pk_fma_f32 v[96:97], v[132:133], s[12:13], v[96:97] op_sel:[0,0,1] op_sel_hi:[1,0,0] neg_lo:[0,0,1] neg_hi:[0,0,1]
	v_pk_mul_f32 v[102:103], v[138:139], s[38:39] op_sel_hi:[1,0]
	v_pk_add_f32 v[86:87], v[54:55], v[86:87]
	v_mov_b32_e32 v100, v98
	v_mov_b32_e32 v101, v97
	v_pk_fma_f32 v[104:105], v[136:137], s[36:37], v[102:103] op_sel:[0,0,1] op_sel_hi:[1,0,0]
	v_pk_fma_f32 v[102:103], v[136:137], s[36:37], v[102:103] op_sel:[0,0,1] op_sel_hi:[1,0,0] neg_lo:[0,0,1] neg_hi:[0,0,1]
	v_pk_mul_f32 v[108:109], v[148:149], s[28:29] op_sel_hi:[1,0]
	v_pk_add_f32 v[86:87], v[94:95], v[86:87]
	v_mov_b32_e32 v106, v104
	v_mov_b32_e32 v107, v103
	v_pk_fma_f32 v[114:115], v[140:141], s[6:7], v[108:109] op_sel:[0,0,1] op_sel_hi:[1,0,0]
	v_pk_fma_f32 v[108:109], v[140:141], s[6:7], v[108:109] op_sel:[0,0,1] op_sel_hi:[1,0,0] neg_lo:[0,0,1] neg_hi:[0,0,1]
	v_pk_add_f32 v[86:87], v[100:101], v[86:87]
	v_pk_mul_f32 v[94:95], v[150:151], s[34:35] op_sel_hi:[1,0]
	v_mov_b32_e32 v116, v114
	v_mov_b32_e32 v117, v109
	v_pk_add_f32 v[86:87], v[106:107], v[86:87]
	v_pk_fma_f32 v[100:101], v[142:143], s[24:25], v[94:95] op_sel:[0,0,1] op_sel_hi:[1,0,0]
	v_pk_fma_f32 v[94:95], v[142:143], s[24:25], v[94:95] op_sel:[0,0,1] op_sel_hi:[1,0,0] neg_lo:[0,0,1] neg_hi:[0,0,1]
	v_pk_add_f32 v[86:87], v[116:117], v[86:87]
	v_mov_b32_e32 v106, v100
	v_mov_b32_e32 v107, v95
	v_pk_add_f32 v[86:87], v[106:107], v[86:87]
	ds_write2_b64 v113, v[88:89], v[86:87] offset0:2 offset1:3
	v_pk_mul_f32 v[86:87], v[76:77], s[14:15] op_sel_hi:[1,0]
	v_pk_mul_f32 v[116:117], v[130:131], s[30:31] op_sel_hi:[1,0]
	v_pk_fma_f32 v[88:89], v[74:75], s[12:13], v[86:87] op_sel:[0,0,1] op_sel_hi:[1,0,0]
	v_pk_fma_f32 v[86:87], v[74:75], s[12:13], v[86:87] op_sel:[0,0,1] op_sel_hi:[1,0,0] neg_lo:[0,0,1] neg_hi:[0,0,1]
	v_mov_b32_e32 v106, v88
	v_mov_b32_e32 v107, v87
	v_pk_fma_f32 v[118:119], v[128:129], s[24:25], v[116:117] op_sel:[0,0,1] op_sel_hi:[1,0,0]
	v_pk_fma_f32 v[116:117], v[128:129], s[24:25], v[116:117] op_sel:[0,0,1] op_sel_hi:[1,0,0] neg_lo:[0,0,1] neg_hi:[0,0,1]
	v_pk_mul_f32 v[154:155], v[134:135], s[38:39] op_sel_hi:[1,0]
	v_mov_b32_e32 v152, v118
	v_mov_b32_e32 v153, v117
	v_pk_fma_f32 v[156:157], v[132:133], s[36:37], v[154:155] op_sel:[0,0,1] op_sel_hi:[1,0,0]
	v_pk_fma_f32 v[154:155], v[132:133], s[36:37], v[154:155] op_sel:[0,0,1] op_sel_hi:[1,0,0] neg_lo:[0,0,1] neg_hi:[0,0,1]
	v_pk_mul_f32 v[160:161], v[138:139], s[40:41] op_sel_hi:[1,0]
	s_mov_b32 s30, 0x3e750f2a
	v_pk_add_f32 v[106:107], v[54:55], v[106:107]
	v_mov_b32_e32 v158, v156
	v_mov_b32_e32 v159, v155
	v_pk_fma_f32 v[162:163], v[136:137], s[18:19], v[160:161] op_sel:[0,0,1] op_sel_hi:[1,0,0]
	v_pk_fma_f32 v[160:161], v[136:137], s[18:19], v[160:161] op_sel:[0,0,1] op_sel_hi:[1,0,0] neg_lo:[0,0,1] neg_hi:[0,0,1]
	v_pk_mul_f32 v[166:167], v[148:149], s[30:31] op_sel_hi:[1,0]
	v_pk_add_f32 v[106:107], v[152:153], v[106:107]
	s_mov_b32 s40, 0x3f52af12
	v_mov_b32_e32 v164, v162
	v_mov_b32_e32 v165, v161
	v_pk_fma_f32 v[168:169], v[140:141], s[22:23], v[166:167] op_sel:[0,0,1] op_sel_hi:[1,0,0]
	v_pk_fma_f32 v[166:167], v[140:141], s[22:23], v[166:167] op_sel:[0,0,1] op_sel_hi:[1,0,0] neg_lo:[0,0,1] neg_hi:[0,0,1]
	v_pk_add_f32 v[106:107], v[158:159], v[106:107]
	v_pk_mul_f32 v[152:153], v[150:151], s[40:41] op_sel_hi:[1,0]
	v_mov_b32_e32 v170, v168
	v_mov_b32_e32 v171, v167
	v_pk_add_f32 v[106:107], v[164:165], v[106:107]
	v_pk_fma_f32 v[158:159], v[142:143], s[6:7], v[152:153] op_sel:[0,0,1] op_sel_hi:[1,0,0]
	v_pk_fma_f32 v[152:153], v[142:143], s[6:7], v[152:153] op_sel:[0,0,1] op_sel_hi:[1,0,0] neg_lo:[0,0,1] neg_hi:[0,0,1]
	v_pk_add_f32 v[106:107], v[170:171], v[106:107]
	v_mov_b32_e32 v164, v158
	v_mov_b32_e32 v165, v153
	v_pk_add_f32 v[106:107], v[164:165], v[106:107]
	v_pk_mul_f32 v[164:165], v[76:77], s[34:35] op_sel_hi:[1,0]
	v_pk_mul_f32 v[174:175], v[130:131], s[20:21] op_sel_hi:[1,0]
	v_pk_fma_f32 v[170:171], v[74:75], s[24:25], v[164:165] op_sel:[0,0,1] op_sel_hi:[1,0,0]
	v_pk_fma_f32 v[164:165], v[74:75], s[24:25], v[164:165] op_sel:[0,0,1] op_sel_hi:[1,0,0] neg_lo:[0,0,1] neg_hi:[0,0,1]
	v_mov_b32_e32 v172, v170
	v_mov_b32_e32 v173, v165
	v_pk_fma_f32 v[176:177], v[128:129], s[18:19], v[174:175] op_sel:[0,0,1] op_sel_hi:[1,0,0]
	v_pk_fma_f32 v[174:175], v[128:129], s[18:19], v[174:175] op_sel:[0,0,1] op_sel_hi:[1,0,0] neg_lo:[0,0,1] neg_hi:[0,0,1]
	v_pk_mul_f32 v[180:181], v[134:135], s[28:29] op_sel_hi:[1,0]
	v_mov_b32_e32 v178, v176
	v_mov_b32_e32 v179, v175
	v_pk_fma_f32 v[182:183], v[132:133], s[6:7], v[180:181] op_sel:[0,0,1] op_sel_hi:[1,0,0]
	v_pk_fma_f32 v[180:181], v[132:133], s[6:7], v[180:181] op_sel:[0,0,1] op_sel_hi:[1,0,0] neg_lo:[0,0,1] neg_hi:[0,0,1]
	v_pk_mul_f32 v[186:187], v[138:139], s[30:31] op_sel_hi:[1,0]
	v_pk_add_f32 v[172:173], v[54:55], v[172:173]
	v_mov_b32_e32 v184, v182
	v_mov_b32_e32 v185, v181
	v_pk_fma_f32 v[188:189], v[136:137], s[22:23], v[186:187] op_sel:[0,0,1] op_sel_hi:[1,0,0]
	v_pk_fma_f32 v[186:187], v[136:137], s[22:23], v[186:187] op_sel:[0,0,1] op_sel_hi:[1,0,0] neg_lo:[0,0,1] neg_hi:[0,0,1]
	v_pk_mul_f32 v[192:193], v[148:149], s[38:39] op_sel_hi:[1,0]
	v_pk_add_f32 v[172:173], v[178:179], v[172:173]
	v_mov_b32_e32 v190, v188
	v_mov_b32_e32 v191, v187
	v_pk_fma_f32 v[194:195], v[140:141], s[36:37], v[192:193] op_sel:[0,0,1] op_sel_hi:[1,0,0]
	v_pk_fma_f32 v[192:193], v[140:141], s[36:37], v[192:193] op_sel:[0,0,1] op_sel_hi:[1,0,0] neg_lo:[0,0,1] neg_hi:[0,0,1]
	v_pk_add_f32 v[172:173], v[184:185], v[172:173]
	v_pk_mul_f32 v[178:179], v[150:151], s[14:15] op_sel_hi:[1,0]
	v_mov_b32_e32 v196, v194
	v_mov_b32_e32 v197, v193
	v_pk_add_f32 v[172:173], v[190:191], v[172:173]
	v_pk_fma_f32 v[184:185], v[142:143], s[12:13], v[178:179] op_sel:[0,0,1] op_sel_hi:[1,0,0]
	v_pk_fma_f32 v[178:179], v[142:143], s[12:13], v[178:179] op_sel:[0,0,1] op_sel_hi:[1,0,0] neg_lo:[0,0,1] neg_hi:[0,0,1]
	v_pk_add_f32 v[172:173], v[196:197], v[172:173]
	v_mov_b32_e32 v190, v184
	v_mov_b32_e32 v191, v179
	v_pk_add_f32 v[172:173], v[190:191], v[172:173]
	v_pk_mul_f32 v[76:77], v[76:77], s[26:27] op_sel_hi:[1,0]
	ds_write2_b64 v113, v[106:107], v[172:173] offset0:4 offset1:5
	v_pk_fma_f32 v[106:107], v[74:75], s[22:23], v[76:77] op_sel:[0,0,1] op_sel_hi:[1,0,0]
	v_pk_fma_f32 v[74:75], v[74:75], s[22:23], v[76:77] op_sel:[0,0,1] op_sel_hi:[1,0,0] neg_lo:[0,0,1] neg_hi:[0,0,1]
	v_pk_mul_f32 v[130:131], v[130:131], s[38:39] op_sel_hi:[1,0]
	v_mov_b32_e32 v76, v106
	v_mov_b32_e32 v77, v75
	v_pk_fma_f32 v[172:173], v[128:129], s[36:37], v[130:131] op_sel:[0,0,1] op_sel_hi:[1,0,0]
	v_pk_fma_f32 v[128:129], v[128:129], s[36:37], v[130:131] op_sel:[0,0,1] op_sel_hi:[1,0,0] neg_lo:[0,0,1] neg_hi:[0,0,1]
	v_pk_mul_f32 v[134:135], v[134:135], s[34:35] op_sel_hi:[1,0]
	v_mov_b32_e32 v75, v107
	v_mov_b32_e32 v130, v172
	;; [unrolled: 1-line block ×3, first 2 shown]
	v_pk_fma_f32 v[190:191], v[132:133], s[24:25], v[134:135] op_sel:[0,0,1] op_sel_hi:[1,0,0]
	v_pk_fma_f32 v[132:133], v[132:133], s[24:25], v[134:135] op_sel:[0,0,1] op_sel_hi:[1,0,0] neg_lo:[0,0,1] neg_hi:[0,0,1]
	v_pk_mul_f32 v[138:139], v[138:139], s[40:41] op_sel_hi:[1,0]
	v_pk_add_f32 v[76:77], v[54:55], v[76:77]
	v_mov_b32_e32 v129, v173
	v_pk_add_f32 v[74:75], v[54:55], v[74:75]
	v_mov_b32_e32 v134, v190
	v_mov_b32_e32 v135, v133
	v_pk_fma_f32 v[196:197], v[136:137], s[6:7], v[138:139] op_sel:[0,0,1] op_sel_hi:[1,0,0]
	v_pk_fma_f32 v[136:137], v[136:137], s[6:7], v[138:139] op_sel:[0,0,1] op_sel_hi:[1,0,0] neg_lo:[0,0,1] neg_hi:[0,0,1]
	v_pk_mul_f32 v[148:149], v[148:149], s[14:15] op_sel_hi:[1,0]
	v_pk_add_f32 v[76:77], v[130:131], v[76:77]
	v_mov_b32_e32 v133, v191
	v_pk_add_f32 v[74:75], v[128:129], v[74:75]
	v_mov_b32_e32 v138, v196
	v_mov_b32_e32 v139, v137
	v_pk_fma_f32 v[198:199], v[140:141], s[12:13], v[148:149] op_sel:[0,0,1] op_sel_hi:[1,0,0]
	v_pk_fma_f32 v[140:141], v[140:141], s[12:13], v[148:149] op_sel:[0,0,1] op_sel_hi:[1,0,0] neg_lo:[0,0,1] neg_hi:[0,0,1]
	v_pk_add_f32 v[76:77], v[134:135], v[76:77]
	v_pk_mul_f32 v[130:131], v[150:151], s[20:21] op_sel_hi:[1,0]
	v_mov_b32_e32 v137, v197
	v_pk_add_f32 v[74:75], v[132:133], v[74:75]
	v_mov_b32_e32 v148, v198
	v_mov_b32_e32 v149, v141
	v_pk_add_f32 v[76:77], v[138:139], v[76:77]
	v_pk_fma_f32 v[134:135], v[142:143], s[18:19], v[130:131] op_sel:[0,0,1] op_sel_hi:[1,0,0]
	v_pk_fma_f32 v[130:131], v[142:143], s[18:19], v[130:131] op_sel:[0,0,1] op_sel_hi:[1,0,0] neg_lo:[0,0,1] neg_hi:[0,0,1]
	v_mov_b32_e32 v141, v199
	v_pk_add_f32 v[74:75], v[136:137], v[74:75]
	v_pk_add_f32 v[76:77], v[148:149], v[76:77]
	v_mov_b32_e32 v138, v134
	v_mov_b32_e32 v139, v131
	v_pk_add_f32 v[74:75], v[140:141], v[74:75]
	v_mov_b32_e32 v131, v135
	v_pk_add_f32 v[76:77], v[138:139], v[76:77]
	v_pk_add_f32 v[74:75], v[130:131], v[74:75]
	v_mov_b32_e32 v165, v171
	v_mov_b32_e32 v87, v89
	ds_write2_b64 v113, v[76:77], v[74:75] offset0:6 offset1:7
	v_mov_b32_e32 v175, v177
	v_pk_add_f32 v[74:75], v[54:55], v[164:165]
	v_mov_b32_e32 v117, v119
	v_pk_add_f32 v[76:77], v[54:55], v[86:87]
	;; [unrolled: 2-line block ×8, first 2 shown]
	v_pk_add_f32 v[74:75], v[192:193], v[74:75]
	v_mov_b32_e32 v179, v185
	v_pk_add_f32 v[76:77], v[166:167], v[76:77]
	v_mov_b32_e32 v153, v159
	v_pk_add_f32 v[74:75], v[178:179], v[74:75]
	v_pk_add_f32 v[76:77], v[152:153], v[76:77]
	v_mov_b32_e32 v83, v85
	v_mov_b32_e32 v49, v57
	ds_write2_b64 v113, v[74:75], v[76:77] offset0:8 offset1:9
	v_mov_b32_e32 v91, v93
	v_pk_add_f32 v[74:75], v[54:55], v[82:83]
	v_mov_b32_e32 v59, v61
	v_pk_add_f32 v[48:49], v[54:55], v[48:49]
	;; [unrolled: 2-line block ×8, first 2 shown]
	v_pk_add_f32 v[74:75], v[108:109], v[74:75]
	v_mov_b32_e32 v95, v101
	v_pk_add_f32 v[48:49], v[70:71], v[48:49]
	v_mov_b32_e32 v147, v145
	v_pk_add_f32 v[74:75], v[94:95], v[74:75]
	v_pk_add_f32 v[48:49], v[146:147], v[48:49]
	ds_write2_b64 v113, v[74:75], v[48:49] offset0:10 offset1:11
	ds_write_b64 v113, v[126:127] offset:96
	s_waitcnt lgkmcnt(0)
	s_barrier
	ds_read2_b64 v[70:73], v112 offset1:68
	ds_read2_b64 v[54:57], v112 offset0:136 offset1:221
	ds_read2_b64 v[74:77], v22 offset0:186 offset1:254
	;; [unrolled: 1-line block ×5, first 2 shown]
	v_mov_b32_e32 v22, v23
	v_mov_b32_e32 v128, v110
	;; [unrolled: 1-line block ×4, first 2 shown]
	s_mov_b64 s[6:7], exec
	s_and_b64 s[2:3], s[6:7], s[2:3]
	v_mov_b32_e32 v252, v202
	s_mov_b64 exec, s[2:3]
	s_cbranch_execz .LBB0_15
; %bb.14:
	v_add_u32_e32 v48, 0xd00, v112
	ds_read2_b64 v[50:53], v48 offset0:9 offset1:230
	ds_read_b64 v[126:127], v80 offset:1632
	ds_read_b64 v[120:121], v112 offset:6936
.LBB0_15:
	s_or_b64 exec, exec, s[6:7]
	v_mov_b32_e32 v48, v5
	s_waitcnt lgkmcnt(4)
	v_pk_mul_f32 v[48:49], v[48:49], v[56:57] op_sel:[0,1] op_sel_hi:[1,0]
	v_accvgpr_read_b32 v85, a35
	v_pk_fma_f32 v[48:49], v[4:5], v[56:57], v[48:49]
	v_pk_mul_f32 v[4:5], v[4:5], v[56:57] op_sel:[0,1] op_sel_hi:[1,0]
	s_waitcnt lgkmcnt(3)
	v_pk_mul_f32 v[56:57], v[6:7], v[74:75]
	v_accvgpr_read_b32 v84, a34
	v_mov_b32_e32 v49, v56
	v_pk_fma_f32 v[56:57], v[6:7], v[74:75], v[48:49]
	v_mov_b32_e32 v49, v74
	v_mov_b32_e32 v56, v85
	s_waitcnt lgkmcnt(2)
	v_pk_mul_f32 v[82:83], v[56:57], v[64:65] op_sel:[0,1] op_sel_hi:[1,0]
	v_pk_mul_f32 v[78:79], v[6:7], v[48:49]
	v_pk_fma_f32 v[82:83], v[84:85], v[64:65], v[82:83]
	v_mul_f32_e32 v81, v9, v51
	v_mul_f32_e32 v7, v9, v50
	v_pk_mul_f32 v[64:65], v[84:85], v[64:65] op_sel:[0,1] op_sel_hi:[1,0]
	v_fmac_f32_e32 v81, v8, v50
	v_fma_f32 v83, v8, v51, -v7
	v_accvgpr_read_b32 v8, a32
	v_mov_b32_e32 v84, v4
	v_mov_b32_e32 v85, v64
	;; [unrolled: 1-line block ×3, first 2 shown]
	v_accvgpr_read_b32 v9, a33
	v_pk_add_f32 v[4:5], v[84:85], v[64:65] neg_lo:[0,1] neg_hi:[0,1]
	v_accvgpr_read_b32 v97, a31
	s_waitcnt lgkmcnt(0)
	v_mul_f32_e32 v94, v9, v121
	v_mul_f32_e32 v7, v9, v120
	v_pk_mul_f32 v[84:85], v[2:3], v[76:77] op_sel:[0,1]
	v_accvgpr_read_b32 v96, a30
	v_mul_f32_e32 v91, v11, v53
	v_fmac_f32_e32 v94, v8, v120
	v_fma_f32 v93, v8, v121, -v7
	v_mov_b32_e32 v8, v5
	v_pk_mul_f32 v[64:65], v[0:1], v[66:67] op_sel_hi:[0,1]
	v_pk_mul_f32 v[86:87], v[96:97], v[58:59] op_sel_hi:[0,1]
	v_fmac_f32_e32 v91, v10, v52
	v_mul_f32_e32 v92, v10, v53
	v_mul_f32_e32 v90, v11, v52
	v_pk_add_f32 v[8:9], v[4:5], v[8:9] neg_lo:[0,1] neg_hi:[0,1]
	v_pk_fma_f32 v[10:11], v[2:3], v[76:77], v[84:85] op_sel:[0,0,1] op_sel_hi:[1,0,0] neg_lo:[1,0,0] neg_hi:[1,0,0]
	v_pk_fma_f32 v[2:3], v[2:3], v[76:77], v[84:85] op_sel:[0,0,1] op_sel_hi:[1,0,0]
	v_fma_f32 v7, v4, 2.0, -v8
	v_pk_fma_f32 v[4:5], v[0:1], v[66:67], v[64:65] op_sel:[1,0,1] op_sel_hi:[1,1,0]
	v_pk_fma_f32 v[0:1], v[0:1], v[66:67], v[64:65] op_sel:[1,0,1] op_sel_hi:[1,1,0] neg_lo:[1,0,0] neg_hi:[1,0,0]
	v_mov_b32_e32 v3, v11
	v_pk_fma_f32 v[10:11], v[96:97], v[58:59], v[86:87] op_sel:[0,0,1] op_sel_hi:[1,1,0]
	v_pk_fma_f32 v[50:51], v[96:97], v[58:59], v[86:87] op_sel:[1,0,1] op_sel_hi:[1,1,0] neg_lo:[1,0,0] neg_hi:[1,0,0]
	v_mov_b32_e32 v1, v5
	v_mov_b32_e32 v51, v11
	v_pk_add_f32 v[10:11], v[72:73], v[2:3] neg_lo:[0,1] neg_hi:[0,1]
	v_pk_add_f32 v[50:51], v[0:1], v[50:51] neg_lo:[0,1] neg_hi:[0,1]
	v_fma_f32 v2, v72, 2.0, -v10
	v_fma_f32 v56, v5, 2.0, -v51
	v_mov_b32_e32 v3, v70
	v_add_f32_e32 v58, v2, v2
	v_pk_add_f32 v[4:5], v[2:3], v[56:57] neg_lo:[0,1] neg_hi:[0,1]
	v_mov_b32_e32 v2, v73
	v_mov_b32_e32 v3, v6
	v_mov_b32_e32 v74, 2.0
	v_mov_b32_e32 v78, v11
	v_pk_fma_f32 v[2:3], v[2:3], v[74:75], v[78:79] neg_lo:[0,0,1] neg_hi:[0,0,1]
	v_mov_b32_e32 v75, v71
	v_fma_f32 v0, v0, 2.0, -v50
	v_pk_mul_f32 v[56:57], v[74:75], v[2:3]
	v_pk_add_f32 v[66:67], v[70:71], v[2:3] neg_lo:[0,1] neg_hi:[0,1]
	v_mov_b32_e32 v3, v48
	v_mov_b32_e32 v1, v82
	;; [unrolled: 1-line block ×3, first 2 shown]
	v_pk_add_f32 v[72:73], v[2:3], v[0:1] neg_lo:[0,1] neg_hi:[0,1]
	v_pk_fma_f32 v[64:65], v[70:71], 2.0, v[66:67] op_sel_hi:[1,0,1] neg_lo:[0,0,1] neg_hi:[0,0,1]
	v_fma_f32 v6, v48, 2.0, -v73
	v_pk_add_f32 v[52:53], v[64:65], v[6:7] neg_lo:[0,1] neg_hi:[0,1]
	v_mov_b32_e32 v3, v8
	v_pk_add_f32 v[8:9], v[10:11], v[50:51] neg_lo:[0,1] neg_hi:[0,1]
	v_pk_add_f32 v[6:7], v[10:11], v[50:51]
	v_pk_mul_f32 v[20:21], v[20:21], v[68:69]
	v_mov_b32_e32 v7, v9
	v_pk_mul_f32 v[22:23], v[22:23], v[62:63]
	v_pk_fma_f32 v[50:51], v[10:11], 2.0, v[6:7] op_sel_hi:[1,0,1] neg_lo:[0,0,1] neg_hi:[0,0,1]
	v_pk_fma_f32 v[8:9], v[124:125], v[68:69], v[20:21] op_sel:[0,0,1] op_sel_hi:[1,1,0]
	v_pk_fma_f32 v[10:11], v[124:125], v[68:69], v[20:21] op_sel:[0,0,1] op_sel_hi:[1,1,0] neg_lo:[0,0,1] neg_hi:[0,0,1]
	v_pk_mul_f32 v[88:89], v[110:111], v[60:61]
	v_mov_b32_e32 v9, v11
	v_pk_fma_f32 v[10:11], v[122:123], v[62:63], v[22:23] op_sel:[0,0,1] op_sel_hi:[1,1,0]
	v_pk_fma_f32 v[20:21], v[122:123], v[62:63], v[22:23] op_sel:[0,0,1] op_sel_hi:[1,1,0] neg_lo:[0,0,1] neg_hi:[0,0,1]
	v_pk_fma_f32 v[22:23], v[128:129], v[60:61], v[88:89] op_sel:[0,0,1] op_sel_hi:[1,1,0] neg_lo:[0,0,1] neg_hi:[0,0,1]
	v_mov_b32_e32 v11, v21
	v_pk_fma_f32 v[20:21], v[128:129], v[60:61], v[88:89] op_sel:[0,0,1] op_sel_hi:[1,1,0]
	v_pk_add_f32 v[10:11], v[54:55], v[10:11] neg_lo:[0,1] neg_hi:[0,1]
	v_mov_b32_e32 v21, v23
	v_mov_b32_e32 v57, v67
	v_pk_fma_f32 v[22:23], v[54:55], 2.0, v[10:11] op_sel_hi:[1,0,1] neg_lo:[0,0,1] neg_hi:[0,0,1]
	v_pk_add_f32 v[54:55], v[8:9], v[20:21] neg_lo:[0,1] neg_hi:[0,1]
	v_pk_fma_f32 v[0:1], v[64:65], 2.0, v[52:53] op_sel_hi:[1,0,1] neg_lo:[0,0,1] neg_hi:[0,0,1]
	v_pk_add_f32 v[70:71], v[2:3], v[4:5]
	v_pk_add_f32 v[64:65], v[56:57], v[72:73] neg_lo:[0,1] neg_hi:[0,1]
	v_pk_fma_f32 v[8:9], v[8:9], 2.0, v[54:55] op_sel_hi:[1,0,1] neg_lo:[0,0,1] neg_hi:[0,0,1]
	v_pk_add_f32 v[48:49], v[58:59], v[4:5] neg_lo:[0,1] neg_hi:[0,1]
	v_mov_b32_e32 v74, v71
	v_mov_b32_e32 v75, v65
	v_pk_add_f32 v[20:21], v[22:23], v[8:9] neg_lo:[0,1] neg_hi:[0,1]
	v_sub_f32_e32 v5, v83, v93
	v_mov_b32_e32 v93, v126
	v_pk_fma_f32 v[2:3], v[66:67], 2.0, v[74:75] op_sel_hi:[1,0,1] neg_lo:[0,0,1] neg_hi:[0,0,1]
	v_pk_fma_f32 v[8:9], v[22:23], 2.0, v[20:21] op_sel_hi:[1,0,1] neg_lo:[0,0,1] neg_hi:[0,0,1]
	v_pk_add_f32 v[22:23], v[10:11], v[54:55] op_sel:[0,1] op_sel_hi:[1,0]
	v_pk_add_f32 v[66:67], v[10:11], v[54:55] op_sel:[0,1] op_sel_hi:[1,0] neg_lo:[0,1] neg_hi:[0,1]
	v_add_f32_e32 v55, v126, v126
	v_pk_add_f32 v[62:63], v[92:93], v[90:91] neg_lo:[0,1] neg_hi:[0,1]
	v_mov_b32_e32 v54, v127
	v_pk_add_f32 v[68:69], v[54:55], v[62:63] neg_lo:[0,1] neg_hi:[0,1]
	v_sub_f32_e32 v54, v81, v94
	v_fma_f32 v49, v83, 2.0, -v5
	v_fma_f32 v61, v127, 2.0, -v68
	;; [unrolled: 1-line block ×3, first 2 shown]
	v_mov_b32_e32 v23, v67
	v_sub_f32_e32 v57, v61, v49
	v_pk_add_f32 v[54:55], v[68:69], v[54:55] neg_lo:[0,1] neg_hi:[0,1]
	v_add_f32_e32 v58, v63, v5
	v_accvgpr_read_b32 v5, a37
	v_mov_b32_e32 v49, v64
	v_accvgpr_read_b32 v66, a36
	v_pk_fma_f32 v[10:11], v[10:11], 2.0, v[22:23] op_sel_hi:[1,0,1] neg_lo:[0,0,1] neg_hi:[0,0,1]
	v_mov_b32_e32 v60, v69
	v_mov_b32_e32 v56, v55
	;; [unrolled: 1-line block ×5, first 2 shown]
	s_barrier
	ds_write2_b64 v5, v[0:1], v[2:3] offset1:13
	ds_write2_b64 v5, v[52:53], v[74:75] offset0:26 offset1:39
	ds_write2_b64 v66, v[48:49], v[50:51] offset1:13
	v_mov_b32_e32 v5, v72
	v_accvgpr_read_b32 v49, a38
	ds_write2_b64 v66, v[4:5], v[6:7] offset0:26 offset1:39
	ds_write2_b64 v49, v[8:9], v[10:11] offset1:13
	ds_write2_b64 v49, v[20:21], v[22:23] offset0:26 offset1:39
	s_and_saveexec_b64 s[2:3], vcc
	s_xor_b64 s[2:3], exec, s[2:3]
; %bb.16:
                                        ; implicit-def: $agpr28
                                        ; implicit-def: $agpr29
                                        ; implicit-def: $agpr13
; %bb.17:
	s_or_saveexec_b64 s[2:3], s[2:3]
	v_pk_fma_f32 v[60:61], v[60:61], 2.0, v[56:57] op_sel_hi:[1,0,1] neg_lo:[0,0,1] neg_hi:[0,0,1]
	v_pk_fma_f32 v[62:63], v[62:63], 2.0, v[58:59] op_sel_hi:[1,0,1] neg_lo:[0,0,1] neg_hi:[0,0,1]
	s_xor_b64 exec, exec, s[2:3]
	s_cbranch_execz .LBB0_19
; %bb.18:
	v_accvgpr_read_b32 v23, a28
	v_accvgpr_read_b32 v49, a29
	v_mad_legacy_u16 v23, v23, 52, v49
	v_accvgpr_read_b32 v49, a13
	v_lshl_add_u32 v23, v23, 3, v49
	v_mov_b32_e32 v56, v55
	v_mov_b32_e32 v59, v54
	ds_write2_b64 v23, v[60:61], v[62:63] offset1:13
	ds_write2_b64 v23, v[56:57], v[58:59] offset0:26 offset1:39
.LBB0_19:
	s_or_b64 exec, exec, s[2:3]
	s_waitcnt lgkmcnt(0)
	s_barrier
	s_and_saveexec_b64 s[2:3], s[4:5]
	s_xor_b64 s[2:3], exec, s[2:3]
	s_cbranch_execnz .LBB0_25
; %bb.20:
	s_andn2_saveexec_b64 s[2:3], s[2:3]
	s_cbranch_execnz .LBB0_26
.LBB0_21:
	s_or_b64 exec, exec, s[2:3]
	s_and_saveexec_b64 s[2:3], s[0:1]
	s_cbranch_execz .LBB0_23
.LBB0_22:
	v_mov_b32_e32 v68, v41
	v_mov_b32_e32 v69, v40
	;; [unrolled: 1-line block ×3, first 2 shown]
	v_pk_mul_f32 v[78:79], v[68:69], v[2:3]
	v_accvgpr_read_b32 v83, a41
	v_pk_mul_f32 v[76:77], v[68:69], v[56:57]
	v_mov_b32_e32 v56, v79
	v_accvgpr_read_b32 v82, a40
	v_pk_fma_f32 v[40:41], v[40:41], v[2:3], v[76:77]
	v_pk_fma_f32 v[68:69], v[68:69], v[2:3], v[56:57] neg_lo:[1,0,0] neg_hi:[1,0,0]
	v_mov_b32_e32 v2, v53
	v_pk_mul_f32 v[78:79], v[82:83], v[52:53]
	v_pk_mul_f32 v[2:3], v[82:83], v[2:3]
	v_mov_b32_e32 v56, v79
	v_pk_mul_f32 v[78:79], v[44:45], v[64:65]
	v_pk_fma_f32 v[42:43], v[42:43], v[52:53], v[2:3]
	v_pk_fma_f32 v[52:53], v[82:83], v[52:53], v[56:57] neg_lo:[1,0,0] neg_hi:[1,0,0]
	v_mov_b32_e32 v56, v49
	v_mov_b32_e32 v66, v79
	v_pk_fma_f32 v[78:79], v[44:45], v[56:57], v[66:67]
	v_mov_b32_e32 v83, v44
	v_mov_b32_e32 v44, v47
	;; [unrolled: 1-line block ×6, first 2 shown]
	v_pk_mul_f32 v[44:45], v[44:45], v[48:49]
	v_pk_mul_f32 v[84:85], v[66:67], v[64:65]
	v_pk_fma_f32 v[44:45], v[82:83], v[64:65], v[44:45] neg_lo:[0,0,1] neg_hi:[0,0,1]
	v_mov_b32_e32 v64, v51
	v_pk_mul_f32 v[82:83], v[70:71], v[50:51]
	v_pk_mul_f32 v[64:65], v[70:71], v[64:65]
	v_mov_b32_e32 v66, v83
	v_mov_b32_e32 v74, v5
	;; [unrolled: 1-line block ×3, first 2 shown]
	v_pk_fma_f32 v[36:37], v[36:37], v[50:51], v[64:65]
	v_pk_fma_f32 v[70:71], v[70:71], v[50:51], v[66:67] neg_lo:[1,0,0] neg_hi:[1,0,0]
	v_mov_b32_e32 v50, v39
	v_pk_mul_f32 v[50:51], v[50:51], v[74:75]
	v_pk_fma_f32 v[46:47], v[46:47], v[48:49], v[84:85]
	v_pk_fma_f32 v[82:83], v[38:39], v[4:5], v[50:51]
	v_pk_mul_f32 v[50:51], v[38:39], v[74:75]
	v_mov_b32_e32 v84, v45
	v_mov_b32_e32 v50, v51
	v_pk_fma_f32 v[38:39], v[38:39], v[74:75], v[50:51] neg_lo:[0,0,1] neg_hi:[0,0,1]
	v_mov_b32_e32 v74, v1
	v_pk_add_f32 v[74:75], v[68:69], v[74:75]
	v_mov_b32_e32 v72, v13
	v_pk_add_f32 v[74:75], v[52:53], v[74:75]
	v_mov_b32_e32 v73, v12
	v_mov_b32_e32 v50, v7
	v_pk_add_f32 v[74:75], v[84:85], v[74:75]
	v_pk_add_f32 v[84:85], v[0:1], v[40:41]
	v_pk_mul_f32 v[50:51], v[72:73], v[50:51] op_sel_hi:[1,0]
	v_pk_add_f32 v[84:85], v[42:43], v[84:85]
	s_waitcnt lgkmcnt(0)
	v_accvgpr_read_b32 v89, a43
	v_mov_b32_e32 v4, v67
	v_pk_fma_f32 v[66:67], v[12:13], v[6:7], v[50:51]
	v_pk_mul_f32 v[50:51], v[72:73], v[6:7]
	v_pk_add_f32 v[84:85], v[78:79], v[84:85]
	v_accvgpr_read_b32 v88, a42
	v_mov_b32_e32 v50, v51
	v_pk_add_f32 v[74:75], v[44:45], v[74:75]
	v_pk_add_f32 v[84:85], v[46:47], v[84:85]
	v_pk_mul_f32 v[76:77], v[30:31], v[88:89] op_sel:[0,1]
	v_pk_fma_f32 v[72:73], v[72:73], v[6:7], v[50:51] neg_lo:[1,0,0] neg_hi:[1,0,0]
	v_pk_mul_f32 v[6:7], v[14:15], v[8:9] op_sel:[0,1]
	v_pk_add_f32 v[74:75], v[70:71], v[74:75]
	v_pk_add_f32 v[84:85], v[36:37], v[84:85]
	v_mov_b32_e32 v56, v57
	v_pk_fma_f32 v[86:87], v[30:31], v[88:89], v[76:77] op_sel:[0,0,1] op_sel_hi:[1,1,0]
	v_pk_fma_f32 v[30:31], v[30:31], v[88:89], v[76:77] op_sel:[0,0,1] op_sel_hi:[1,0,0] neg_lo:[1,0,0] neg_hi:[1,0,0]
	v_pk_fma_f32 v[76:77], v[14:15], v[8:9], v[6:7] op_sel:[0,0,1] op_sel_hi:[1,0,0]
	v_pk_fma_f32 v[88:89], v[14:15], v[8:9], v[6:7] op_sel:[0,0,1] op_sel_hi:[1,0,0] neg_lo:[1,0,0] neg_hi:[1,0,0]
	v_mov_b32_e32 v8, v82
	v_mov_b32_e32 v9, v38
	;; [unrolled: 1-line block ×3, first 2 shown]
	v_pk_mul_f32 v[2:3], v[28:29], v[54:55] op_sel_hi:[1,0]
	v_pk_mul_f32 v[56:57], v[34:35], v[56:57] op_sel_hi:[1,0]
	v_pk_mul_f32 v[48:49], v[32:33], v[62:63] op_sel:[0,1]
	v_pk_mul_f32 v[64:65], v[26:27], v[60:61] op_sel:[0,1]
	v_pk_mul_f32 v[4:5], v[24:25], v[4:5] op_sel_hi:[1,0]
	v_pk_mul_f32 v[12:13], v[18:19], v[20:21] op_sel:[0,1]
	v_pk_mul_f32 v[50:51], v[16:17], v[10:11] op_sel:[0,1]
	v_pk_add_f32 v[8:9], v[8:9], v[84:85]
	v_mov_b32_e32 v14, v66
	v_mov_b32_e32 v15, v72
	;; [unrolled: 1-line block ×3, first 2 shown]
	v_pk_fma_f32 v[30:31], v[28:29], v[58:59], v[2:3] op_sel:[0,0,1] op_sel_hi:[1,0,0]
	v_pk_fma_f32 v[28:29], v[28:29], v[58:59], v[2:3] op_sel:[0,0,1] op_sel_hi:[1,0,0] neg_lo:[1,0,0] neg_hi:[1,0,0]
	v_pk_fma_f32 v[58:59], v[34:35], v[54:55], v[56:57] op_sel:[0,1,1] op_sel_hi:[1,1,0]
	v_pk_fma_f32 v[34:35], v[34:35], v[54:55], v[56:57] op_sel:[0,1,1] op_sel_hi:[1,1,0] neg_lo:[1,0,0] neg_hi:[1,0,0]
	;; [unrolled: 2-line block ×7, first 2 shown]
	v_mov_b32_e32 v6, v76
	v_mov_b32_e32 v7, v89
	v_pk_add_f32 v[8:9], v[14:15], v[8:9]
	v_mov_b32_e32 v10, v20
	v_mov_b32_e32 v11, v17
	v_pk_add_f32 v[6:7], v[6:7], v[8:9]
	v_mov_b32_e32 v12, v24
	v_mov_b32_e32 v13, v19
	v_pk_add_f32 v[6:7], v[10:11], v[6:7]
	v_mov_b32_e32 v4, v64
	v_mov_b32_e32 v5, v23
	v_pk_add_f32 v[6:7], v[12:13], v[6:7]
	v_mov_b32_e32 v60, v62
	v_mov_b32_e32 v61, v27
	v_pk_add_f32 v[4:5], v[4:5], v[6:7]
	v_mov_b32_e32 v48, v56
	v_mov_b32_e32 v49, v33
	v_pk_add_f32 v[4:5], v[60:61], v[4:5]
	v_mov_b32_e32 v54, v58
	v_mov_b32_e32 v55, v35
	v_pk_add_f32 v[4:5], v[48:49], v[4:5]
	v_mov_b32_e32 v2, v30
	v_mov_b32_e32 v3, v29
	v_pk_add_f32 v[4:5], v[54:55], v[4:5]
	v_pk_add_f32 v[6:7], v[78:79], v[58:59] neg_lo:[0,1] neg_hi:[0,1]
	v_pk_add_f32 v[2:3], v[2:3], v[4:5]
	v_pk_add_f32 v[4:5], v[42:43], v[30:31] neg_lo:[0,1] neg_hi:[0,1]
	v_pk_add_f32 v[2:3], v[86:87], v[2:3]
	ds_write_b64 v112, v[2:3]
	v_pk_add_f32 v[2:3], v[42:43], v[30:31]
	v_pk_add_f32 v[8:9], v[46:47], v[56:57] neg_lo:[0,1] neg_hi:[0,1]
	v_mov_b32_e32 v3, v4
	v_pk_add_f32 v[4:5], v[78:79], v[58:59]
	v_pk_add_f32 v[10:11], v[36:37], v[62:63] neg_lo:[0,1] neg_hi:[0,1]
	v_mov_b32_e32 v5, v6
	;; [unrolled: 3-line block ×4, first 2 shown]
	v_pk_add_f32 v[10:11], v[82:83], v[64:65]
	s_mov_b32 s18, 0x3f3d2fb0
	v_mov_b32_e32 v11, v12
	v_pk_add_f32 v[12:13], v[66:67], v[24:25]
	v_pk_add_f32 v[30:31], v[52:53], v[28:29] op_sel:[0,1] neg_lo:[0,1] neg_hi:[0,1]
	v_pk_add_f32 v[50:51], v[52:53], v[28:29] op_sel_hi:[0,1]
	v_pk_add_f32 v[28:29], v[44:45], v[34:35] neg_lo:[0,1] neg_hi:[0,1]
	v_pk_add_f32 v[52:53], v[44:45], v[34:35]
	v_pk_add_f32 v[34:35], v[44:45], v[32:33] op_sel:[0,1] neg_lo:[0,1] neg_hi:[0,1]
	v_pk_add_f32 v[54:55], v[44:45], v[32:33] op_sel_hi:[0,1]
	v_pk_add_f32 v[32:33], v[70:71], v[26:27] op_sel:[0,1] neg_lo:[0,1] neg_hi:[0,1]
	v_pk_add_f32 v[56:57], v[70:71], v[26:27] op_sel_hi:[0,1]
	;; [unrolled: 2-line block ×3, first 2 shown]
	v_mov_b32_e32 v13, v14
	v_pk_add_f32 v[22:23], v[72:73], v[18:19] op_sel:[0,1] neg_lo:[0,1] neg_hi:[0,1]
	v_pk_add_f32 v[60:61], v[72:73], v[18:19] op_sel_hi:[0,1]
	v_pk_add_f32 v[14:15], v[76:77], v[20:21]
	v_pk_add_f32 v[18:19], v[76:77], v[20:21] neg_lo:[0,1] neg_hi:[0,1]
	s_mov_b32 s19, 0xbf2c7751
	s_mov_b32 s14, 0x3ee437d1
	v_mov_b32_e32 v50, v30
	v_mov_b32_e32 v15, v18
	v_pk_add_f32 v[18:19], v[88:89], v[16:17] neg_lo:[0,1] neg_hi:[0,1]
	v_pk_add_f32 v[62:63], v[88:89], v[16:17]
	v_pk_mul_f32 v[16:17], v[2:3], s[18:19]
	s_mov_b32 s48, s19
	s_mov_b32 s49, s18
	;; [unrolled: 1-line block ×4, first 2 shown]
	v_mov_b32_e32 v52, v29
	v_pk_mul_f32 v[20:21], v[4:5], s[14:15]
	s_mov_b32 s54, s15
	s_mov_b32 s55, s14
	;; [unrolled: 1-line block ×4, first 2 shown]
	v_pk_fma_f32 v[48:49], v[30:31], s[48:49], v[16:17] neg_lo:[1,0,0] neg_hi:[1,0,0]
	v_pk_fma_f32 v[64:65], v[50:51], s[48:49], v[16:17]
	v_pk_fma_f32 v[16:17], v[50:51], s[48:49], v[16:17] neg_lo:[0,0,1] neg_hi:[0,0,1]
	v_mov_b32_e32 v54, v34
	v_pk_mul_f32 v[24:25], v[6:7], s[0:1]
	s_mov_b32 s44, s1
	s_mov_b32 s45, s0
	;; [unrolled: 1-line block ×4, first 2 shown]
	v_mov_b32_e32 v49, v65
	v_pk_fma_f32 v[66:67], v[28:29], s[54:55], v[20:21] op_sel:[1,0,0] neg_lo:[1,0,0] neg_hi:[1,0,0]
	v_pk_fma_f32 v[70:71], v[52:53], s[54:55], v[20:21]
	v_mov_b32_e32 v65, v17
	v_pk_fma_f32 v[16:17], v[52:53], s[54:55], v[20:21] neg_lo:[0,0,1] neg_hi:[0,0,1]
	v_mov_b32_e32 v56, v32
	v_pk_mul_f32 v[36:37], v[8:9], s[28:29]
	s_mov_b32 s38, s29
	s_mov_b32 s39, s28
	;; [unrolled: 1-line block ×4, first 2 shown]
	v_mov_b32_e32 v67, v71
	v_pk_fma_f32 v[72:73], v[34:35], s[44:45], v[24:25] neg_lo:[1,0,0] neg_hi:[1,0,0]
	v_pk_fma_f32 v[74:75], v[54:55], s[44:45], v[24:25]
	v_mov_b32_e32 v71, v17
	v_pk_fma_f32 v[16:17], v[54:55], s[44:45], v[24:25] neg_lo:[0,0,1] neg_hi:[0,0,1]
	v_mov_b32_e32 v58, v26
	v_pk_mul_f32 v[38:39], v[10:11], s[4:5]
	s_mov_b32 s40, s5
	s_mov_b32 s41, s4
	s_mov_b32 s13, 0xbf06c442
	s_mov_b32 s6, 0xbf7ba420
	v_mov_b32_e32 v73, v75
	v_pk_fma_f32 v[76:77], v[32:33], s[38:39], v[36:37] neg_lo:[1,0,0] neg_hi:[1,0,0]
	v_pk_fma_f32 v[78:79], v[56:57], s[38:39], v[36:37]
	v_mov_b32_e32 v75, v17
	v_pk_fma_f32 v[16:17], v[56:57], s[38:39], v[36:37] neg_lo:[0,0,1] neg_hi:[0,0,1]
	v_mov_b32_e32 v60, v22
	v_pk_mul_f32 v[42:43], v[12:13], s[12:13]
	s_mov_b32 s42, s13
	s_mov_b32 s43, s12
	;; [unrolled: 1-line block ×3, first 2 shown]
	v_mov_b32_e32 v77, v79
	v_pk_fma_f32 v[82:83], v[26:27], s[40:41], v[38:39] neg_lo:[1,0,0] neg_hi:[1,0,0]
	v_pk_fma_f32 v[84:85], v[58:59], s[40:41], v[38:39]
	v_mov_b32_e32 v79, v17
	v_pk_fma_f32 v[16:17], v[58:59], s[40:41], v[38:39] neg_lo:[0,0,1] neg_hi:[0,0,1]
	v_mov_b32_e32 v41, v68
	v_mov_b32_e32 v62, v19
	v_pk_mul_f32 v[44:45], v[14:15], s[6:7]
	s_mov_b32 s50, s7
	s_mov_b32 s51, s6
	v_mov_b32_e32 v83, v85
	v_pk_fma_f32 v[88:89], v[22:23], s[42:43], v[42:43] neg_lo:[1,0,0] neg_hi:[1,0,0]
	v_pk_fma_f32 v[90:91], v[60:61], s[42:43], v[42:43]
	v_mov_b32_e32 v85, v17
	v_pk_fma_f32 v[16:17], v[60:61], s[42:43], v[42:43] neg_lo:[0,0,1] neg_hi:[0,0,1]
	v_pk_add_f32 v[128:129], v[40:41], v[86:87] neg_lo:[0,1] neg_hi:[0,1]
	s_mov_b32 s20, s19
	v_mov_b32_e32 v89, v91
	v_pk_fma_f32 v[92:93], v[18:19], s[50:51], v[44:45] op_sel:[1,0,0] neg_lo:[1,0,0] neg_hi:[1,0,0]
	v_pk_fma_f32 v[94:95], v[62:63], s[50:51], v[44:45]
	v_mov_b32_e32 v91, v17
	v_pk_fma_f32 v[16:17], v[62:63], s[50:51], v[44:45] neg_lo:[0,0,1] neg_hi:[0,0,1]
	v_pk_add_f32 v[126:127], v[86:87], v[40:41]
	v_pk_mul_f32 v[18:19], v[128:129], s[20:21] op_sel_hi:[1,0]
	v_mov_b32_e32 v93, v95
	v_mov_b32_e32 v95, v17
	v_pk_fma_f32 v[16:17], v[126:127], s[18:19], v[18:19] op_sel:[0,0,1] op_sel_hi:[1,0,0]
	v_pk_fma_f32 v[18:19], v[126:127], s[18:19], v[18:19] op_sel:[0,0,1] op_sel_hi:[1,0,0] neg_lo:[0,0,1] neg_hi:[0,0,1]
	v_mov_b32_e32 v20, v16
	v_mov_b32_e32 v21, v19
	v_pk_mul_f32 v[22:23], v[50:51], s[44:45]
	v_pk_add_f32 v[24:25], v[0:1], v[20:21]
	v_pk_fma_f32 v[20:21], v[2:3], s[0:1], v[22:23]
	v_pk_fma_f32 v[26:27], v[2:3], s[0:1], v[22:23] neg_lo:[1,0,0] neg_hi:[1,0,0]
	s_mov_b32 s21, 0x3f06c442
	v_mov_b32_e32 v26, v20
	v_pk_add_f32 v[28:29], v[26:27], v[24:25]
	v_pk_mul_f32 v[26:27], v[52:53], s[40:41]
	s_mov_b32 s64, s21
	v_pk_fma_f32 v[24:25], v[4:5], s[4:5], v[26:27]
	v_pk_fma_f32 v[30:31], v[4:5], s[4:5], v[26:27] neg_lo:[1,0,0] neg_hi:[1,0,0]
	s_mov_b32 s65, s12
	v_mov_b32_e32 v30, v24
	v_pk_add_f32 v[32:33], v[30:31], v[28:29]
	v_pk_mul_f32 v[30:31], v[54:55], s[50:51]
	s_mov_b32 s20, s12
	;; [unrolled: 7-line block ×3, first 2 shown]
	v_pk_fma_f32 v[32:33], v[8:9], s[20:21], v[34:35]
	v_pk_fma_f32 v[38:39], v[8:9], s[20:21], v[34:35] neg_lo:[1,0,0] neg_hi:[1,0,0]
	s_mov_b32 s63, s28
	v_mov_b32_e32 v38, v32
	v_pk_add_f32 v[40:41], v[38:39], v[36:37]
	s_mov_b32 s22, s28
	v_pk_mul_f32 v[38:39], v[58:59], s[62:63]
	s_mov_b32 s25, 0x3f65296c
	v_pk_fma_f32 v[36:37], v[10:11], s[22:23], v[38:39]
	v_pk_fma_f32 v[42:43], v[10:11], s[22:23], v[38:39] neg_lo:[1,0,0] neg_hi:[1,0,0]
	s_mov_b32 s52, s25
	v_mov_b32_e32 v42, v36
	s_mov_b32 s53, s14
	v_pk_add_f32 v[44:45], v[42:43], v[40:41]
	s_mov_b32 s24, s14
	v_pk_mul_f32 v[42:43], v[60:61], s[52:53]
	s_mov_b32 s26, 0x3f6eb680
	v_pk_fma_f32 v[40:41], v[12:13], s[24:25], v[42:43]
	v_pk_fma_f32 v[46:47], v[12:13], s[24:25], v[42:43] neg_lo:[1,0,0] neg_hi:[1,0,0]
	s_mov_b32 s27, 0x3eb8f4ab
	v_mov_b32_e32 v46, v40
	s_mov_b32 s56, s27
	s_mov_b32 s57, s26
	v_pk_add_f32 v[68:69], v[46:47], v[44:45]
	v_pk_mul_f32 v[46:47], v[62:63], s[56:57]
	s_mov_b32 s31, 0xbeb8f4ab
	v_pk_fma_f32 v[44:45], v[14:15], s[26:27], v[46:47]
	v_pk_fma_f32 v[86:87], v[14:15], s[26:27], v[46:47] neg_lo:[1,0,0] neg_hi:[1,0,0]
	s_mov_b32 s30, s26
	v_mov_b32_e32 v86, v44
	v_pk_add_f32 v[68:69], v[86:87], v[68:69]
	v_mov_b32_e32 v86, v126
	v_mov_b32_e32 v87, v128
	v_pk_mul_f32 v[86:87], v[86:87], s[30:31]
	v_mov_b32_e32 v96, v129
	v_mov_b32_e32 v97, v127
	s_mov_b32 s60, s31
	s_mov_b32 s61, s26
	v_pk_fma_f32 v[98:99], v[96:97], s[60:61], v[86:87] neg_lo:[1,0,0] neg_hi:[1,0,0]
	v_pk_fma_f32 v[100:101], v[96:97], s[60:61], v[86:87]
	s_mov_b32 s46, s15
	v_mov_b32_e32 v99, v101
	v_pk_add_f32 v[98:99], v[0:1], v[98:99]
	s_mov_b32 s35, 0x3e3c28d5
	v_pk_add_f32 v[48:49], v[48:49], v[98:99]
	s_mov_b32 s36, s35
	v_pk_add_f32 v[48:49], v[66:67], v[48:49]
	v_pk_fma_f32 v[66:67], v[96:97], s[60:61], v[86:87] neg_lo:[0,0,1] neg_hi:[0,0,1]
	v_pk_add_f32 v[48:49], v[72:73], v[48:49]
	v_mov_b32_e32 v101, v67
	v_pk_add_f32 v[66:67], v[0:1], v[100:101]
	v_pk_mul_f32 v[96:97], v[128:129], s[46:47] op_sel_hi:[1,0]
	v_pk_add_f32 v[64:65], v[64:65], v[66:67]
	v_pk_add_f32 v[48:49], v[76:77], v[48:49]
	;; [unrolled: 1-line block ×3, first 2 shown]
	v_pk_mul_f32 v[66:67], v[50:51], s[40:41]
	v_pk_add_f32 v[64:65], v[74:75], v[64:65]
	s_mov_b32 s37, s6
	v_pk_fma_f32 v[122:123], v[126:127], s[14:15], v[96:97] op_sel:[0,0,1] op_sel_hi:[1,0,0]
	v_pk_fma_f32 v[124:125], v[126:127], s[14:15], v[96:97] op_sel:[0,0,1] op_sel_hi:[1,0,0] neg_lo:[0,0,1] neg_hi:[0,0,1]
	v_pk_add_f32 v[48:49], v[82:83], v[48:49]
	v_pk_add_f32 v[64:65], v[78:79], v[64:65]
	s_mov_b32 s34, s6
	v_pk_mul_f32 v[74:75], v[52:53], s[36:37]
	s_mov_b32 s37, 0x3f2c7751
	v_pk_fma_f32 v[108:109], v[2:3], s[4:5], v[66:67]
	v_pk_fma_f32 v[82:83], v[2:3], s[4:5], v[66:67] neg_lo:[1,0,0] neg_hi:[1,0,0]
	v_mov_b32_e32 v96, v122
	v_mov_b32_e32 v97, v125
	s_mov_b32 s68, s1
	v_pk_add_f32 v[64:65], v[84:85], v[64:65]
	v_pk_mul_f32 v[70:71], v[54:55], s[62:63]
	s_mov_b32 s58, s37
	s_mov_b32 s59, s18
	v_mov_b32_e32 v82, v108
	v_pk_fma_f32 v[110:111], v[4:5], s[34:35], v[74:75]
	v_pk_fma_f32 v[84:85], v[4:5], s[34:35], v[74:75] neg_lo:[1,0,0] neg_hi:[1,0,0]
	v_pk_add_f32 v[96:97], v[0:1], v[96:97]
	v_pk_mul_f32 v[98:99], v[128:129], s[68:69] op_sel_hi:[1,0]
	v_pk_add_f32 v[64:65], v[90:91], v[64:65]
	s_mov_b32 s36, s18
	v_pk_mul_f32 v[76:77], v[56:57], s[58:59]
	v_mov_b32_e32 v84, v110
	v_pk_fma_f32 v[78:79], v[6:7], s[22:23], v[70:71]
	v_pk_fma_f32 v[86:87], v[6:7], s[22:23], v[70:71] neg_lo:[1,0,0] neg_hi:[1,0,0]
	v_pk_add_f32 v[82:83], v[82:83], v[96:97]
	v_pk_mul_f32 v[142:143], v[50:51], s[50:51]
	v_pk_fma_f32 v[158:159], v[126:127], s[0:1], v[98:99] op_sel:[0,0,1] op_sel_hi:[1,0,0]
	v_pk_fma_f32 v[160:161], v[126:127], s[0:1], v[98:99] op_sel:[0,0,1] op_sel_hi:[1,0,0] neg_lo:[0,0,1] neg_hi:[0,0,1]
	v_pk_add_f32 v[48:49], v[88:89], v[48:49]
	v_pk_add_f32 v[64:65], v[94:95], v[64:65]
	v_pk_mul_f32 v[72:73], v[58:59], s[60:61]
	v_mov_b32_e32 v86, v78
	v_pk_fma_f32 v[114:115], v[8:9], s[36:37], v[76:77]
	v_pk_fma_f32 v[88:89], v[8:9], s[36:37], v[76:77] neg_lo:[1,0,0] neg_hi:[1,0,0]
	v_pk_add_f32 v[82:83], v[84:85], v[82:83]
	v_pk_mul_f32 v[140:141], v[52:53], s[62:63]
	v_pk_fma_f32 v[144:145], v[2:3], s[6:7], v[142:143]
	v_pk_fma_f32 v[84:85], v[2:3], s[6:7], v[142:143] neg_lo:[1,0,0] neg_hi:[1,0,0]
	v_mov_b32_e32 v98, v158
	v_mov_b32_e32 v99, v161
	ds_write2_b64 v80, v[64:65], v[68:69] offset0:52 offset1:104
	v_pk_mul_f32 v[68:69], v[60:61], s[44:45]
	v_mov_b32_e32 v88, v114
	v_pk_fma_f32 v[116:117], v[10:11], s[30:31], v[72:73]
	v_pk_fma_f32 v[90:91], v[10:11], s[30:31], v[72:73] neg_lo:[1,0,0] neg_hi:[1,0,0]
	v_pk_add_f32 v[82:83], v[86:87], v[82:83]
	v_pk_mul_f32 v[138:139], v[54:55], s[56:57]
	v_mov_b32_e32 v84, v144
	v_pk_fma_f32 v[146:147], v[4:5], s[22:23], v[140:141]
	v_pk_fma_f32 v[86:87], v[4:5], s[22:23], v[140:141] neg_lo:[1,0,0] neg_hi:[1,0,0]
	v_pk_add_f32 v[98:99], v[0:1], v[98:99]
	v_pk_add_f32 v[48:49], v[92:93], v[48:49]
	v_pk_mul_f32 v[64:65], v[62:63], s[42:43]
	v_mov_b32_e32 v90, v116
	v_pk_fma_f32 v[118:119], v[12:13], s[0:1], v[68:69]
	v_pk_fma_f32 v[92:93], v[12:13], s[0:1], v[68:69] neg_lo:[1,0,0] neg_hi:[1,0,0]
	v_pk_add_f32 v[82:83], v[88:89], v[82:83]
	v_pk_mul_f32 v[134:135], v[56:57], s[54:55]
	s_mov_b32 s47, 0x3f4c4adb
	v_mov_b32_e32 v86, v146
	v_pk_fma_f32 v[148:149], v[6:7], s[26:27], v[138:139]
	v_pk_fma_f32 v[88:89], v[6:7], s[26:27], v[138:139] neg_lo:[1,0,0] neg_hi:[1,0,0]
	v_pk_add_f32 v[84:85], v[84:85], v[98:99]
	v_mov_b32_e32 v92, v118
	v_pk_fma_f32 v[120:121], v[14:15], s[12:13], v[64:65]
	v_pk_fma_f32 v[94:95], v[14:15], s[12:13], v[64:65] neg_lo:[1,0,0] neg_hi:[1,0,0]
	v_pk_add_f32 v[82:83], v[90:91], v[82:83]
	v_pk_mul_f32 v[130:131], v[58:59], s[42:43]
	s_mov_b32 s66, s47
	s_mov_b32 s67, s4
	v_mov_b32_e32 v88, v148
	v_pk_fma_f32 v[150:151], v[8:9], s[14:15], v[134:135]
	v_pk_fma_f32 v[90:91], v[8:9], s[14:15], v[134:135] neg_lo:[1,0,0] neg_hi:[1,0,0]
	v_pk_add_f32 v[84:85], v[86:87], v[84:85]
	v_mov_b32_e32 v94, v120
	v_pk_add_f32 v[82:83], v[92:93], v[82:83]
	s_mov_b32 s46, s4
	v_pk_mul_f32 v[136:137], v[60:61], s[66:67]
	v_mov_b32_e32 v90, v150
	v_pk_fma_f32 v[152:153], v[10:11], s[12:13], v[130:131]
	v_pk_fma_f32 v[92:93], v[10:11], s[12:13], v[130:131] neg_lo:[1,0,0] neg_hi:[1,0,0]
	v_pk_add_f32 v[84:85], v[88:89], v[84:85]
	v_pk_add_f32 v[82:83], v[94:95], v[82:83]
	v_pk_mul_f32 v[132:133], v[62:63], s[58:59]
	v_mov_b32_e32 v92, v152
	v_pk_fma_f32 v[154:155], v[12:13], s[46:47], v[136:137]
	v_pk_fma_f32 v[94:95], v[12:13], s[46:47], v[136:137] neg_lo:[1,0,0] neg_hi:[1,0,0]
	v_pk_add_f32 v[84:85], v[90:91], v[84:85]
	v_mov_b32_e32 v94, v154
	v_pk_fma_f32 v[156:157], v[14:15], s[36:37], v[132:133]
	v_pk_fma_f32 v[96:97], v[14:15], s[36:37], v[132:133] neg_lo:[1,0,0] neg_hi:[1,0,0]
	v_pk_add_f32 v[84:85], v[92:93], v[84:85]
	v_mov_b32_e32 v96, v156
	v_pk_add_f32 v[84:85], v[94:95], v[84:85]
	s_mov_b32 s68, s29
	v_pk_add_f32 v[84:85], v[96:97], v[84:85]
	v_pk_mul_f32 v[96:97], v[128:129], s[68:69] op_sel_hi:[1,0]
	v_pk_mul_f32 v[174:175], v[50:51], s[64:65]
	v_pk_fma_f32 v[190:191], v[126:127], s[28:29], v[96:97] op_sel:[0,0,1] op_sel_hi:[1,0,0]
	v_pk_fma_f32 v[192:193], v[126:127], s[28:29], v[96:97] op_sel:[0,0,1] op_sel_hi:[1,0,0] neg_lo:[0,0,1] neg_hi:[0,0,1]
	ds_write2_b64 v80, v[82:83], v[84:85] offset0:156 offset1:208
	v_pk_mul_f32 v[172:173], v[52:53], s[58:59]
	v_pk_fma_f32 v[176:177], v[2:3], s[20:21], v[174:175]
	v_pk_fma_f32 v[82:83], v[2:3], s[20:21], v[174:175] neg_lo:[1,0,0] neg_hi:[1,0,0]
	v_mov_b32_e32 v96, v190
	v_mov_b32_e32 v97, v193
	v_pk_mul_f32 v[168:169], v[54:55], s[54:55]
	s_mov_b32 s55, 0x3f7ee86f
	v_mov_b32_e32 v82, v176
	v_pk_fma_f32 v[178:179], v[4:5], s[36:37], v[172:173]
	v_pk_fma_f32 v[84:85], v[4:5], s[36:37], v[172:173] neg_lo:[1,0,0] neg_hi:[1,0,0]
	v_pk_add_f32 v[96:97], v[0:1], v[96:97]
	v_pk_mul_f32 v[164:165], v[56:57], s[50:51]
	s_mov_b32 s64, s55
	s_mov_b32 s65, s0
	v_mov_b32_e32 v84, v178
	v_pk_fma_f32 v[180:181], v[6:7], s[14:15], v[168:169]
	v_pk_fma_f32 v[86:87], v[6:7], s[14:15], v[168:169] neg_lo:[1,0,0] neg_hi:[1,0,0]
	v_pk_add_f32 v[82:83], v[82:83], v[96:97]
	s_mov_b32 s54, s0
	v_pk_mul_f32 v[170:171], v[58:59], s[64:65]
	v_mov_b32_e32 v86, v180
	v_pk_fma_f32 v[182:183], v[8:9], s[6:7], v[164:165]
	v_pk_fma_f32 v[88:89], v[8:9], s[6:7], v[164:165] neg_lo:[1,0,0] neg_hi:[1,0,0]
	v_pk_add_f32 v[82:83], v[84:85], v[82:83]
	v_pk_mul_f32 v[166:167], v[60:61], s[60:61]
	v_mov_b32_e32 v88, v182
	v_pk_fma_f32 v[184:185], v[10:11], s[54:55], v[170:171]
	v_pk_fma_f32 v[90:91], v[10:11], s[54:55], v[170:171] neg_lo:[1,0,0] neg_hi:[1,0,0]
	v_pk_add_f32 v[82:83], v[86:87], v[82:83]
	v_pk_mul_f32 v[194:195], v[58:59], s[48:49]
	s_mov_b32 s48, s5
	v_pk_mul_f32 v[162:163], v[62:63], s[40:41]
	v_mov_b32_e32 v90, v184
	v_pk_fma_f32 v[186:187], v[12:13], s[30:31], v[166:167]
	v_pk_fma_f32 v[92:93], v[12:13], s[30:31], v[166:167] neg_lo:[1,0,0] neg_hi:[1,0,0]
	v_pk_add_f32 v[82:83], v[88:89], v[82:83]
	v_pk_mul_f32 v[212:213], v[128:129], s[48:49] op_sel_hi:[1,0]
	v_mov_b32_e32 v92, v186
	v_pk_fma_f32 v[188:189], v[14:15], s[4:5], v[162:163]
	v_pk_fma_f32 v[94:95], v[14:15], s[4:5], v[162:163] neg_lo:[1,0,0] neg_hi:[1,0,0]
	v_pk_add_f32 v[82:83], v[90:91], v[82:83]
	v_pk_mul_f32 v[84:85], v[50:51], s[62:63]
	v_pk_fma_f32 v[214:215], v[126:127], s[4:5], v[212:213] op_sel:[0,0,1] op_sel_hi:[1,0,0]
	v_pk_fma_f32 v[212:213], v[126:127], s[4:5], v[212:213] op_sel:[0,0,1] op_sel_hi:[1,0,0] neg_lo:[0,0,1] neg_hi:[0,0,1]
	v_mov_b32_e32 v94, v188
	v_pk_add_f32 v[82:83], v[92:93], v[82:83]
	v_pk_fma_f32 v[86:87], v[2:3], s[22:23], v[84:85]
	v_pk_fma_f32 v[88:89], v[2:3], s[22:23], v[84:85] neg_lo:[1,0,0] neg_hi:[1,0,0]
	v_pk_mul_f32 v[90:91], v[52:53], s[60:61]
	v_mov_b32_e32 v216, v214
	v_mov_b32_e32 v217, v213
	v_pk_add_f32 v[82:83], v[94:95], v[82:83]
	v_mov_b32_e32 v88, v86
	v_pk_fma_f32 v[92:93], v[4:5], s[30:31], v[90:91]
	v_pk_fma_f32 v[94:95], v[4:5], s[30:31], v[90:91] neg_lo:[1,0,0] neg_hi:[1,0,0]
	v_pk_mul_f32 v[96:97], v[54:55], s[42:43]
	v_pk_add_f32 v[216:217], v[0:1], v[216:217]
	v_mov_b32_e32 v94, v92
	v_pk_fma_f32 v[98:99], v[6:7], s[12:13], v[96:97]
	v_pk_fma_f32 v[100:101], v[6:7], s[12:13], v[96:97] neg_lo:[1,0,0] neg_hi:[1,0,0]
	v_pk_mul_f32 v[102:103], v[56:57], s[64:65]
	v_pk_add_f32 v[88:89], v[88:89], v[216:217]
	v_mov_b32_e32 v100, v98
	v_pk_fma_f32 v[104:105], v[8:9], s[54:55], v[102:103]
	v_pk_fma_f32 v[106:107], v[8:9], s[54:55], v[102:103] neg_lo:[1,0,0] neg_hi:[1,0,0]
	v_pk_add_f32 v[88:89], v[94:95], v[88:89]
	v_mov_b32_e32 v106, v104
	v_pk_fma_f32 v[196:197], v[10:11], s[18:19], v[194:195]
	v_pk_fma_f32 v[198:199], v[10:11], s[18:19], v[194:195] neg_lo:[1,0,0] neg_hi:[1,0,0]
	v_pk_mul_f32 v[200:201], v[60:61], s[50:51]
	v_pk_add_f32 v[88:89], v[100:101], v[88:89]
	v_mov_b32_e32 v198, v196
	v_pk_fma_f32 v[202:203], v[12:13], s[6:7], v[200:201]
	v_pk_fma_f32 v[204:205], v[12:13], s[6:7], v[200:201] neg_lo:[1,0,0] neg_hi:[1,0,0]
	v_pk_mul_f32 v[206:207], v[62:63], s[52:53]
	v_pk_add_f32 v[88:89], v[106:107], v[88:89]
	v_mov_b32_e32 v204, v202
	v_pk_fma_f32 v[208:209], v[14:15], s[24:25], v[206:207]
	v_pk_fma_f32 v[210:211], v[14:15], s[24:25], v[206:207] neg_lo:[1,0,0] neg_hi:[1,0,0]
	v_pk_add_f32 v[88:89], v[198:199], v[88:89]
	v_mov_b32_e32 v210, v208
	v_pk_add_f32 v[88:89], v[204:205], v[88:89]
	v_add_u32_e32 v16, 0x800, v80
	v_pk_add_f32 v[88:89], v[210:211], v[88:89]
	ds_write2_b64 v16, v[82:83], v[88:89] offset0:4 offset1:56
	v_pk_mul_f32 v[88:89], v[52:53], s[44:45]
	s_mov_b32 s44, s13
	v_pk_mul_f32 v[242:243], v[128:129], s[44:45] op_sel_hi:[1,0]
	v_pk_mul_f32 v[82:83], v[50:51], s[52:53]
	v_pk_fma_f32 v[244:245], v[126:127], s[12:13], v[242:243] op_sel:[0,0,1] op_sel_hi:[1,0,0]
	v_pk_fma_f32 v[242:243], v[126:127], s[12:13], v[242:243] op_sel:[0,0,1] op_sel_hi:[1,0,0] neg_lo:[0,0,1] neg_hi:[0,0,1]
	v_pk_fma_f32 v[210:211], v[2:3], s[24:25], v[82:83]
	v_pk_fma_f32 v[216:217], v[2:3], s[24:25], v[82:83] neg_lo:[1,0,0] neg_hi:[1,0,0]
	v_mov_b32_e32 v246, v244
	v_mov_b32_e32 v247, v243
	v_pk_mul_f32 v[94:95], v[54:55], s[66:67]
	v_mov_b32_e32 v216, v210
	v_pk_fma_f32 v[218:219], v[4:5], s[0:1], v[88:89]
	v_pk_fma_f32 v[220:221], v[4:5], s[0:1], v[88:89] neg_lo:[1,0,0] neg_hi:[1,0,0]
	v_pk_add_f32 v[246:247], v[0:1], v[246:247]
	v_pk_mul_f32 v[100:101], v[56:57], s[60:61]
	v_mov_b32_e32 v220, v218
	v_pk_fma_f32 v[222:223], v[6:7], s[46:47], v[94:95]
	v_pk_fma_f32 v[224:225], v[6:7], s[46:47], v[94:95] neg_lo:[1,0,0] neg_hi:[1,0,0]
	v_pk_add_f32 v[216:217], v[216:217], v[246:247]
	v_pk_mul_f32 v[106:107], v[58:59], s[50:51]
	v_pk_mul_f32 v[198:199], v[60:61], s[58:59]
	;; [unrolled: 1-line block ×3, first 2 shown]
	v_mov_b32_e32 v224, v222
	v_pk_fma_f32 v[226:227], v[8:9], s[30:31], v[100:101]
	v_pk_fma_f32 v[228:229], v[8:9], s[30:31], v[100:101] neg_lo:[1,0,0] neg_hi:[1,0,0]
	v_pk_add_f32 v[216:217], v[220:221], v[216:217]
	v_pk_mul_f32 v[60:61], v[60:61], s[38:39]
	s_mov_b32 s38, s7
	v_mov_b32_e32 v228, v226
	v_pk_fma_f32 v[230:231], v[10:11], s[6:7], v[106:107]
	v_pk_fma_f32 v[232:233], v[10:11], s[6:7], v[106:107] neg_lo:[1,0,0] neg_hi:[1,0,0]
	v_pk_add_f32 v[216:217], v[224:225], v[216:217]
	v_pk_mul_f32 v[128:129], v[128:129], s[38:39] op_sel_hi:[1,0]
	v_mov_b32_e32 v232, v230
	v_pk_fma_f32 v[234:235], v[12:13], s[36:37], v[198:199]
	v_pk_fma_f32 v[236:237], v[12:13], s[36:37], v[198:199] neg_lo:[1,0,0] neg_hi:[1,0,0]
	v_pk_add_f32 v[216:217], v[228:229], v[216:217]
	v_pk_mul_f32 v[50:51], v[50:51], s[56:57]
	v_pk_fma_f32 v[248:249], v[126:127], s[6:7], v[128:129] op_sel:[0,0,1] op_sel_hi:[1,0,0]
	v_pk_fma_f32 v[126:127], v[126:127], s[6:7], v[128:129] op_sel:[0,0,1] op_sel_hi:[1,0,0] neg_lo:[0,0,1] neg_hi:[0,0,1]
	v_mov_b32_e32 v236, v234
	v_pk_fma_f32 v[238:239], v[14:15], s[28:29], v[204:205]
	v_pk_fma_f32 v[240:241], v[14:15], s[28:29], v[204:205] neg_lo:[1,0,0] neg_hi:[1,0,0]
	v_pk_add_f32 v[216:217], v[232:233], v[216:217]
	v_pk_mul_f32 v[52:53], v[52:53], s[42:43]
	v_pk_fma_f32 v[220:221], v[2:3], s[26:27], v[50:51]
	v_pk_fma_f32 v[224:225], v[2:3], s[26:27], v[50:51] neg_lo:[1,0,0] neg_hi:[1,0,0]
	v_mov_b32_e32 v128, v248
	v_mov_b32_e32 v129, v127
	;; [unrolled: 1-line block ×3, first 2 shown]
	v_pk_add_f32 v[216:217], v[236:237], v[216:217]
	v_pk_mul_f32 v[54:55], v[54:55], s[58:59]
	v_mov_b32_e32 v224, v220
	v_pk_fma_f32 v[228:229], v[4:5], s[12:13], v[52:53]
	v_pk_fma_f32 v[232:233], v[4:5], s[12:13], v[52:53] neg_lo:[1,0,0] neg_hi:[1,0,0]
	v_pk_add_f32 v[128:129], v[0:1], v[128:129]
	v_pk_add_f32 v[216:217], v[240:241], v[216:217]
	v_pk_mul_f32 v[56:57], v[56:57], s[40:41]
	v_mov_b32_e32 v232, v228
	v_pk_fma_f32 v[236:237], v[6:7], s[36:37], v[54:55]
	v_pk_fma_f32 v[240:241], v[6:7], s[36:37], v[54:55] neg_lo:[1,0,0] neg_hi:[1,0,0]
	v_pk_add_f32 v[128:129], v[224:225], v[128:129]
	v_pk_fma_f32 v[50:51], v[2:3], s[26:27], v[50:51] neg_lo:[0,0,1] neg_hi:[0,0,1]
	v_mov_b32_e32 v127, v249
	v_pk_mul_f32 v[58:59], v[58:59], s[52:53]
	v_mov_b32_e32 v240, v236
	v_pk_fma_f32 v[246:247], v[8:9], s[4:5], v[56:57]
	v_pk_fma_f32 v[224:225], v[8:9], s[4:5], v[56:57] neg_lo:[1,0,0] neg_hi:[1,0,0]
	v_pk_add_f32 v[128:129], v[232:233], v[128:129]
	v_mov_b32_e32 v51, v221
	v_pk_fma_f32 v[52:53], v[4:5], s[12:13], v[52:53] neg_lo:[0,0,1] neg_hi:[0,0,1]
	v_pk_add_f32 v[126:127], v[0:1], v[126:127]
	v_mov_b32_e32 v224, v246
	v_pk_fma_f32 v[232:233], v[10:11], s[24:25], v[58:59]
	v_pk_add_f32 v[128:129], v[240:241], v[128:129]
	v_pk_fma_f32 v[240:241], v[10:11], s[24:25], v[58:59] neg_lo:[1,0,0] neg_hi:[1,0,0]
	v_mov_b32_e32 v53, v229
	v_pk_fma_f32 v[54:55], v[6:7], s[36:37], v[54:55] neg_lo:[0,0,1] neg_hi:[0,0,1]
	v_pk_add_f32 v[50:51], v[50:51], v[126:127]
	v_mov_b32_e32 v240, v232
	v_pk_add_f32 v[128:129], v[224:225], v[128:129]
	v_mov_b32_e32 v55, v237
	v_pk_fma_f32 v[56:57], v[8:9], s[4:5], v[56:57] neg_lo:[0,0,1] neg_hi:[0,0,1]
	v_pk_add_f32 v[50:51], v[52:53], v[50:51]
	v_pk_fma_f32 v[52:53], v[2:3], s[24:25], v[82:83] neg_lo:[0,0,1] neg_hi:[0,0,1]
	v_mov_b32_e32 v243, v245
	v_pk_fma_f32 v[224:225], v[12:13], s[28:29], v[60:61]
	v_pk_add_f32 v[128:129], v[240:241], v[128:129]
	v_pk_fma_f32 v[240:241], v[12:13], s[28:29], v[60:61] neg_lo:[1,0,0] neg_hi:[1,0,0]
	v_mov_b32_e32 v57, v247
	v_pk_fma_f32 v[58:59], v[10:11], s[24:25], v[58:59] neg_lo:[0,0,1] neg_hi:[0,0,1]
	v_pk_add_f32 v[50:51], v[54:55], v[50:51]
	v_mov_b32_e32 v53, v211
	v_pk_fma_f32 v[54:55], v[4:5], s[0:1], v[88:89] neg_lo:[0,0,1] neg_hi:[0,0,1]
	v_pk_add_f32 v[88:89], v[0:1], v[242:243]
	v_pk_mul_f32 v[62:63], v[62:63], s[64:65]
	v_mov_b32_e32 v240, v224
	v_mov_b32_e32 v59, v233
	v_pk_fma_f32 v[60:61], v[12:13], s[28:29], v[60:61] neg_lo:[0,0,1] neg_hi:[0,0,1]
	v_pk_add_f32 v[50:51], v[56:57], v[50:51]
	v_mov_b32_e32 v55, v219
	v_pk_fma_f32 v[56:57], v[6:7], s[46:47], v[94:95] neg_lo:[0,0,1] neg_hi:[0,0,1]
	v_pk_add_f32 v[52:53], v[52:53], v[88:89]
	v_pk_add_f32 v[128:129], v[240:241], v[128:129]
	v_pk_fma_f32 v[240:241], v[14:15], s[54:55], v[62:63]
	v_pk_fma_f32 v[250:251], v[14:15], s[54:55], v[62:63] neg_lo:[1,0,0] neg_hi:[1,0,0]
	v_mov_b32_e32 v61, v225
	v_pk_fma_f32 v[62:63], v[14:15], s[54:55], v[62:63] neg_lo:[0,0,1] neg_hi:[0,0,1]
	v_pk_add_f32 v[50:51], v[58:59], v[50:51]
	v_mov_b32_e32 v57, v223
	v_pk_fma_f32 v[58:59], v[8:9], s[30:31], v[100:101] neg_lo:[0,0,1] neg_hi:[0,0,1]
	v_pk_add_f32 v[52:53], v[54:55], v[52:53]
	v_mov_b32_e32 v63, v241
	v_pk_add_f32 v[50:51], v[60:61], v[50:51]
	v_mov_b32_e32 v59, v227
	v_pk_fma_f32 v[60:61], v[10:11], s[6:7], v[106:107] neg_lo:[0,0,1] neg_hi:[0,0,1]
	v_pk_add_f32 v[52:53], v[56:57], v[52:53]
	v_pk_add_f32 v[50:51], v[62:63], v[50:51]
	v_mov_b32_e32 v61, v231
	v_pk_fma_f32 v[62:63], v[12:13], s[36:37], v[198:199] neg_lo:[0,0,1] neg_hi:[0,0,1]
	v_pk_add_f32 v[52:53], v[58:59], v[52:53]
	v_mov_b32_e32 v250, v240
	v_mov_b32_e32 v63, v235
	v_pk_fma_f32 v[82:83], v[14:15], s[28:29], v[204:205] neg_lo:[0,0,1] neg_hi:[0,0,1]
	v_pk_add_f32 v[52:53], v[60:61], v[52:53]
	v_pk_add_f32 v[128:129], v[250:251], v[128:129]
	v_mov_b32_e32 v83, v239
	v_pk_add_f32 v[52:53], v[62:63], v[52:53]
	ds_write2_b64 v16, v[216:217], v[128:129] offset0:108 offset1:160
	v_pk_add_f32 v[52:53], v[82:83], v[52:53]
	v_add_u32_e32 v16, 0xc00, v80
	ds_write2_b64 v16, v[50:51], v[52:53] offset0:84 offset1:136
	v_pk_fma_f32 v[50:51], v[2:3], s[22:23], v[84:85] neg_lo:[0,0,1] neg_hi:[0,0,1]
	v_mov_b32_e32 v213, v215
	v_mov_b32_e32 v51, v87
	v_pk_fma_f32 v[52:53], v[4:5], s[30:31], v[90:91] neg_lo:[0,0,1] neg_hi:[0,0,1]
	v_pk_add_f32 v[82:83], v[0:1], v[212:213]
	v_mov_b32_e32 v53, v93
	v_pk_fma_f32 v[54:55], v[6:7], s[12:13], v[96:97] neg_lo:[0,0,1] neg_hi:[0,0,1]
	v_pk_add_f32 v[50:51], v[50:51], v[82:83]
	;; [unrolled: 3-line block ×3, first 2 shown]
	v_pk_fma_f32 v[52:53], v[2:3], s[20:21], v[174:175] neg_lo:[0,0,1] neg_hi:[0,0,1]
	v_mov_b32_e32 v193, v191
	v_mov_b32_e32 v57, v105
	v_pk_fma_f32 v[58:59], v[10:11], s[18:19], v[194:195] neg_lo:[0,0,1] neg_hi:[0,0,1]
	v_pk_add_f32 v[50:51], v[54:55], v[50:51]
	v_mov_b32_e32 v53, v177
	v_pk_fma_f32 v[54:55], v[4:5], s[36:37], v[172:173] neg_lo:[0,0,1] neg_hi:[0,0,1]
	v_pk_add_f32 v[84:85], v[0:1], v[192:193]
	;; [unrolled: 3-line block ×6, first 2 shown]
	v_mov_b32_e32 v63, v209
	v_pk_add_f32 v[50:51], v[60:61], v[50:51]
	v_mov_b32_e32 v59, v183
	v_pk_fma_f32 v[60:61], v[10:11], s[54:55], v[170:171] neg_lo:[0,0,1] neg_hi:[0,0,1]
	v_pk_add_f32 v[52:53], v[56:57], v[52:53]
	v_pk_add_f32 v[50:51], v[62:63], v[50:51]
	v_mov_b32_e32 v61, v185
	v_pk_fma_f32 v[62:63], v[12:13], s[30:31], v[166:167] neg_lo:[0,0,1] neg_hi:[0,0,1]
	v_pk_add_f32 v[52:53], v[58:59], v[52:53]
	v_mov_b32_e32 v63, v187
	v_pk_fma_f32 v[82:83], v[14:15], s[4:5], v[162:163] neg_lo:[0,0,1] neg_hi:[0,0,1]
	v_pk_add_f32 v[52:53], v[60:61], v[52:53]
	v_mov_b32_e32 v83, v189
	v_pk_add_f32 v[52:53], v[62:63], v[52:53]
	v_add_u32_e32 v16, 0x1000, v80
	v_pk_add_f32 v[52:53], v[82:83], v[52:53]
	ds_write2_b64 v16, v[50:51], v[52:53] offset0:60 offset1:112
	v_pk_fma_f32 v[50:51], v[2:3], s[6:7], v[142:143] neg_lo:[0,0,1] neg_hi:[0,0,1]
	v_mov_b32_e32 v161, v159
	v_mov_b32_e32 v51, v145
	v_pk_fma_f32 v[52:53], v[4:5], s[22:23], v[140:141] neg_lo:[0,0,1] neg_hi:[0,0,1]
	v_pk_add_f32 v[82:83], v[0:1], v[160:161]
	v_mov_b32_e32 v53, v147
	v_pk_add_f32 v[50:51], v[50:51], v[82:83]
	v_mov_b32_e32 v125, v123
	v_pk_add_f32 v[50:51], v[52:53], v[50:51]
	v_pk_fma_f32 v[52:53], v[2:3], s[4:5], v[66:67] neg_lo:[0,0,1] neg_hi:[0,0,1]
	v_mov_b32_e32 v19, v17
	v_pk_fma_f32 v[2:3], v[2:3], s[0:1], v[22:23] neg_lo:[0,0,1] neg_hi:[0,0,1]
	v_pk_add_f32 v[66:67], v[0:1], v[124:125]
	v_pk_add_f32 v[0:1], v[0:1], v[18:19]
	v_mov_b32_e32 v3, v21
	v_pk_add_f32 v[0:1], v[2:3], v[0:1]
	v_pk_fma_f32 v[2:3], v[4:5], s[4:5], v[26:27] neg_lo:[0,0,1] neg_hi:[0,0,1]
	v_pk_fma_f32 v[54:55], v[6:7], s[26:27], v[138:139] neg_lo:[0,0,1] neg_hi:[0,0,1]
	v_mov_b32_e32 v3, v25
	v_pk_add_f32 v[0:1], v[2:3], v[0:1]
	v_pk_fma_f32 v[2:3], v[6:7], s[6:7], v[30:31] neg_lo:[0,0,1] neg_hi:[0,0,1]
	v_mov_b32_e32 v55, v149
	v_mov_b32_e32 v3, v29
	v_pk_fma_f32 v[56:57], v[8:9], s[14:15], v[134:135] neg_lo:[0,0,1] neg_hi:[0,0,1]
	v_pk_add_f32 v[0:1], v[2:3], v[0:1]
	v_pk_fma_f32 v[2:3], v[8:9], s[20:21], v[34:35] neg_lo:[0,0,1] neg_hi:[0,0,1]
	v_mov_b32_e32 v57, v151
	v_pk_fma_f32 v[58:59], v[10:11], s[12:13], v[130:131] neg_lo:[0,0,1] neg_hi:[0,0,1]
	v_pk_add_f32 v[50:51], v[54:55], v[50:51]
	v_mov_b32_e32 v53, v109
	v_pk_fma_f32 v[54:55], v[4:5], s[34:35], v[74:75] neg_lo:[0,0,1] neg_hi:[0,0,1]
	v_mov_b32_e32 v3, v33
	v_mov_b32_e32 v59, v153
	v_pk_fma_f32 v[60:61], v[12:13], s[46:47], v[136:137] neg_lo:[0,0,1] neg_hi:[0,0,1]
	v_pk_add_f32 v[50:51], v[56:57], v[50:51]
	v_mov_b32_e32 v55, v111
	v_pk_fma_f32 v[56:57], v[6:7], s[22:23], v[70:71] neg_lo:[0,0,1] neg_hi:[0,0,1]
	v_pk_add_f32 v[52:53], v[52:53], v[66:67]
	v_pk_add_f32 v[0:1], v[2:3], v[0:1]
	v_pk_fma_f32 v[2:3], v[10:11], s[22:23], v[38:39] neg_lo:[0,0,1] neg_hi:[0,0,1]
	v_mov_b32_e32 v61, v155
	v_pk_fma_f32 v[62:63], v[14:15], s[36:37], v[132:133] neg_lo:[0,0,1] neg_hi:[0,0,1]
	v_pk_add_f32 v[50:51], v[58:59], v[50:51]
	v_mov_b32_e32 v57, v79
	v_pk_fma_f32 v[58:59], v[8:9], s[36:37], v[76:77] neg_lo:[0,0,1] neg_hi:[0,0,1]
	v_pk_add_f32 v[52:53], v[54:55], v[52:53]
	v_mov_b32_e32 v3, v37
	v_mov_b32_e32 v63, v157
	v_pk_add_f32 v[50:51], v[60:61], v[50:51]
	v_mov_b32_e32 v59, v115
	v_pk_fma_f32 v[60:61], v[10:11], s[30:31], v[72:73] neg_lo:[0,0,1] neg_hi:[0,0,1]
	v_pk_add_f32 v[52:53], v[56:57], v[52:53]
	v_pk_add_f32 v[0:1], v[2:3], v[0:1]
	v_pk_fma_f32 v[2:3], v[12:13], s[24:25], v[42:43] neg_lo:[0,0,1] neg_hi:[0,0,1]
	v_pk_add_f32 v[50:51], v[62:63], v[50:51]
	v_mov_b32_e32 v61, v117
	v_pk_fma_f32 v[62:63], v[12:13], s[0:1], v[68:69] neg_lo:[0,0,1] neg_hi:[0,0,1]
	v_pk_add_f32 v[52:53], v[58:59], v[52:53]
	v_mov_b32_e32 v3, v41
	v_mov_b32_e32 v63, v119
	v_pk_fma_f32 v[64:65], v[14:15], s[12:13], v[64:65] neg_lo:[0,0,1] neg_hi:[0,0,1]
	v_pk_add_f32 v[52:53], v[60:61], v[52:53]
	v_pk_add_f32 v[0:1], v[2:3], v[0:1]
	v_pk_fma_f32 v[2:3], v[14:15], s[26:27], v[46:47] neg_lo:[0,0,1] neg_hi:[0,0,1]
	v_mov_b32_e32 v65, v121
	v_pk_add_f32 v[52:53], v[62:63], v[52:53]
	v_mov_b32_e32 v3, v45
	v_pk_add_f32 v[52:53], v[64:65], v[52:53]
	v_pk_add_f32 v[0:1], v[2:3], v[0:1]
	v_add_u32_e32 v2, 0x1800, v80
	ds_write2_b64 v16, v[50:51], v[52:53] offset0:164 offset1:216
	ds_write2_b64 v2, v[0:1], v[48:49] offset0:12 offset1:64
.LBB0_23:
	s_or_b64 exec, exec, s[2:3]
	v_accvgpr_read_b32 v10, a12
	s_waitcnt lgkmcnt(0)
	s_barrier
	ds_read2_b64 v[0:3], v112 offset1:68
	v_mad_u64_u32 v[6:7], s[0:1], s10, v10, 0
	v_mov_b32_e32 v8, v7
	v_mad_u64_u32 v[8:9], s[0:1], s11, v10, v[8:9]
	v_accvgpr_read_b32 v10, a26
	v_accvgpr_read_b32 v11, a27
	v_mov_b32_e32 v7, v8
	s_waitcnt lgkmcnt(0)
	v_mul_f32_e32 v8, v11, v1
	v_fmac_f32_e32 v8, v10, v0
	v_mul_f32_e32 v0, v11, v0
	s_mov_b32 s0, 0x1288b013
	v_fma_f32 v0, v10, v1, -v0
	v_cvt_f64_f32_e32 v[8:9], v8
	s_mov_b32 s1, 0x3f5288b0
	v_cvt_f64_f32_e32 v[0:1], v0
	v_mul_f64 v[8:9], v[8:9], s[0:1]
	v_mul_f64 v[0:1], v[0:1], s[0:1]
	v_cvt_f32_f64_e32 v8, v[8:9]
	v_cvt_f32_f64_e32 v9, v[0:1]
	v_mad_u64_u32 v[0:1], s[2:3], s8, v252, 0
	v_mov_b32_e32 v10, v1
	v_mov_b32_e32 v4, s16
	;; [unrolled: 1-line block ×3, first 2 shown]
	v_mad_u64_u32 v[10:11], s[2:3], s9, v252, v[10:11]
	v_mov_b32_e32 v1, v10
	v_lshl_add_u64 v[4:5], v[6:7], 3, v[4:5]
	v_lshl_add_u64 v[4:5], v[0:1], 3, v[4:5]
	global_store_dwordx2 v[4:5], v[8:9], off
	v_accvgpr_read_b32 v8, a24
	v_accvgpr_read_b32 v9, a25
	v_mul_f32_e32 v0, v9, v3
	v_fmac_f32_e32 v0, v8, v2
	v_cvt_f64_f32_e32 v[0:1], v0
	v_mul_f64 v[0:1], v[0:1], s[0:1]
	v_cvt_f32_f64_e32 v6, v[0:1]
	v_mul_f32_e32 v0, v9, v2
	v_fma_f32 v0, v8, v3, -v0
	v_cvt_f64_f32_e32 v[0:1], v0
	v_mul_f64 v[0:1], v[0:1], s[0:1]
	v_cvt_f32_f64_e32 v7, v[0:1]
	v_add_u32_e32 v0, 0x400, v112
	ds_read2_b64 v[0:3], v0 offset0:8 offset1:144
	v_mov_b32_e32 v8, 0x220
	v_mad_u64_u32 v[4:5], s[2:3], s8, v8, v[4:5]
	s_mul_i32 s2, s9, 0x220
	v_accvgpr_read_b32 v10, a20
	v_add_u32_e32 v5, s2, v5
	v_accvgpr_read_b32 v11, a21
	global_store_dwordx2 v[4:5], v[6:7], off
	s_waitcnt lgkmcnt(0)
	v_mul_f32_e32 v6, v11, v1
	v_fmac_f32_e32 v6, v10, v0
	v_mul_f32_e32 v0, v11, v0
	v_fma_f32 v0, v10, v1, -v0
	v_cvt_f64_f32_e32 v[6:7], v6
	v_cvt_f64_f32_e32 v[0:1], v0
	v_mul_f64 v[6:7], v[6:7], s[0:1]
	v_mul_f64 v[0:1], v[0:1], s[0:1]
	v_cvt_f32_f64_e32 v6, v[6:7]
	v_cvt_f32_f64_e32 v7, v[0:1]
	ds_read_b64 v[0:1], v80 offset:1632
	v_mad_u64_u32 v[4:5], s[4:5], s8, v8, v[4:5]
	v_accvgpr_read_b32 v10, a14
	v_add_u32_e32 v5, s2, v5
	v_accvgpr_read_b32 v11, a15
	global_store_dwordx2 v[4:5], v[6:7], off
	s_waitcnt lgkmcnt(0)
	v_mul_f32_e32 v6, v11, v1
	v_fmac_f32_e32 v6, v10, v0
	v_mul_f32_e32 v0, v11, v0
	v_fma_f32 v0, v10, v1, -v0
	v_cvt_f64_f32_e32 v[6:7], v6
	v_cvt_f64_f32_e32 v[0:1], v0
	v_accvgpr_read_b32 v10, a22
	v_mul_f64 v[6:7], v[6:7], s[0:1]
	v_mul_f64 v[0:1], v[0:1], s[0:1]
	v_accvgpr_read_b32 v11, a23
	v_cvt_f32_f64_e32 v6, v[6:7]
	v_cvt_f32_f64_e32 v7, v[0:1]
	v_mul_f32_e32 v0, v11, v3
	v_fmac_f32_e32 v0, v10, v2
	v_mad_u64_u32 v[4:5], s[4:5], s8, v8, v[4:5]
	v_cvt_f64_f32_e32 v[0:1], v0
	v_add_u32_e32 v5, s2, v5
	v_mul_f64 v[0:1], v[0:1], s[0:1]
	global_store_dwordx2 v[4:5], v[6:7], off
	v_cvt_f32_f64_e32 v6, v[0:1]
	v_mul_f32_e32 v0, v11, v2
	v_fma_f32 v0, v10, v3, -v0
	v_cvt_f64_f32_e32 v[0:1], v0
	v_mul_f64 v[0:1], v[0:1], s[0:1]
	v_cvt_f32_f64_e32 v7, v[0:1]
	v_add_u32_e32 v0, 0x800, v112
	ds_read2_b64 v[0:3], v0 offset0:84 offset1:152
	v_mad_u64_u32 v[4:5], s[4:5], s8, v8, v[4:5]
	v_accvgpr_read_b32 v10, a18
	v_add_u32_e32 v5, s2, v5
	v_accvgpr_read_b32 v11, a19
	global_store_dwordx2 v[4:5], v[6:7], off
	s_waitcnt lgkmcnt(0)
	v_mul_f32_e32 v6, v11, v1
	v_fmac_f32_e32 v6, v10, v0
	v_mul_f32_e32 v0, v11, v0
	v_fma_f32 v0, v10, v1, -v0
	v_cvt_f64_f32_e32 v[6:7], v6
	v_cvt_f64_f32_e32 v[0:1], v0
	v_accvgpr_read_b32 v10, a16
	v_mul_f64 v[6:7], v[6:7], s[0:1]
	v_mul_f64 v[0:1], v[0:1], s[0:1]
	v_accvgpr_read_b32 v11, a17
	v_cvt_f32_f64_e32 v6, v[6:7]
	v_cvt_f32_f64_e32 v7, v[0:1]
	v_mul_f32_e32 v0, v11, v3
	v_fmac_f32_e32 v0, v10, v2
	v_mad_u64_u32 v[4:5], s[4:5], s8, v8, v[4:5]
	v_cvt_f64_f32_e32 v[0:1], v0
	v_add_u32_e32 v5, s2, v5
	v_mul_f64 v[0:1], v[0:1], s[0:1]
	global_store_dwordx2 v[4:5], v[6:7], off
	v_cvt_f32_f64_e32 v6, v[0:1]
	v_mul_f32_e32 v0, v11, v2
	v_fma_f32 v0, v10, v3, -v0
	v_cvt_f64_f32_e32 v[0:1], v0
	v_mul_f64 v[0:1], v[0:1], s[0:1]
	v_cvt_f32_f64_e32 v7, v[0:1]
	v_add_u32_e32 v0, 0xc00, v112
	ds_read2_b64 v[0:3], v0 offset0:92 offset1:160
	v_mad_u64_u32 v[4:5], s[4:5], s8, v8, v[4:5]
	v_add_u32_e32 v5, s2, v5
	v_accvgpr_read_b32 v11, a9
	global_store_dwordx2 v[4:5], v[6:7], off
	v_accvgpr_read_b32 v10, a8
	s_waitcnt lgkmcnt(0)
	v_mul_f32_e32 v6, v11, v1
	v_fmac_f32_e32 v6, v10, v0
	v_mul_f32_e32 v0, v11, v0
	v_fma_f32 v0, v10, v1, -v0
	v_cvt_f64_f32_e32 v[6:7], v6
	v_cvt_f64_f32_e32 v[0:1], v0
	v_accvgpr_read_b32 v10, a10
	v_mul_f64 v[6:7], v[6:7], s[0:1]
	v_mul_f64 v[0:1], v[0:1], s[0:1]
	v_accvgpr_read_b32 v11, a11
	v_cvt_f32_f64_e32 v6, v[6:7]
	v_cvt_f32_f64_e32 v7, v[0:1]
	v_mul_f32_e32 v0, v11, v3
	v_fmac_f32_e32 v0, v10, v2
	v_mad_u64_u32 v[4:5], s[4:5], s8, v8, v[4:5]
	v_cvt_f64_f32_e32 v[0:1], v0
	v_add_u32_e32 v5, s2, v5
	v_mul_f64 v[0:1], v[0:1], s[0:1]
	global_store_dwordx2 v[4:5], v[6:7], off
	v_cvt_f32_f64_e32 v6, v[0:1]
	v_mul_f32_e32 v0, v11, v2
	v_fma_f32 v0, v10, v3, -v0
	v_cvt_f64_f32_e32 v[0:1], v0
	v_mul_f64 v[0:1], v[0:1], s[0:1]
	v_cvt_f32_f64_e32 v7, v[0:1]
	v_add_u32_e32 v0, 0x1000, v112
	ds_read2_b64 v[0:3], v0 offset0:100 offset1:168
	v_mad_u64_u32 v[4:5], s[4:5], s8, v8, v[4:5]
	v_add_u32_e32 v5, s2, v5
	v_accvgpr_read_b32 v11, a7
	global_store_dwordx2 v[4:5], v[6:7], off
	v_accvgpr_read_b32 v10, a6
	s_waitcnt lgkmcnt(0)
	v_mul_f32_e32 v6, v11, v1
	v_fmac_f32_e32 v6, v10, v0
	v_mul_f32_e32 v0, v11, v0
	v_fma_f32 v0, v10, v1, -v0
	v_cvt_f64_f32_e32 v[6:7], v6
	v_cvt_f64_f32_e32 v[0:1], v0
	v_mul_f64 v[6:7], v[6:7], s[0:1]
	v_mul_f64 v[0:1], v[0:1], s[0:1]
	v_accvgpr_read_b32 v11, a5
	v_cvt_f32_f64_e32 v6, v[6:7]
	v_cvt_f32_f64_e32 v7, v[0:1]
	v_accvgpr_read_b32 v10, a4
	v_mul_f32_e32 v0, v11, v3
	v_fmac_f32_e32 v0, v10, v2
	v_mad_u64_u32 v[4:5], s[4:5], s8, v8, v[4:5]
	v_cvt_f64_f32_e32 v[0:1], v0
	v_add_u32_e32 v5, s2, v5
	v_mul_f64 v[0:1], v[0:1], s[0:1]
	global_store_dwordx2 v[4:5], v[6:7], off
	v_cvt_f32_f64_e32 v6, v[0:1]
	v_mul_f32_e32 v0, v11, v2
	v_fma_f32 v0, v10, v3, -v0
	v_cvt_f64_f32_e32 v[0:1], v0
	v_mul_f64 v[0:1], v[0:1], s[0:1]
	v_cvt_f32_f64_e32 v7, v[0:1]
	v_add_u32_e32 v0, 0x1400, v112
	ds_read2_b64 v[0:3], v0 offset0:108 offset1:176
	v_mad_u64_u32 v[4:5], s[4:5], s8, v8, v[4:5]
	v_add_u32_e32 v5, s2, v5
	v_accvgpr_read_b32 v11, a3
	global_store_dwordx2 v[4:5], v[6:7], off
	v_accvgpr_read_b32 v10, a2
	s_waitcnt lgkmcnt(0)
	v_mul_f32_e32 v6, v11, v1
	v_fmac_f32_e32 v6, v10, v0
	v_mul_f32_e32 v0, v11, v0
	v_fma_f32 v0, v10, v1, -v0
	v_cvt_f64_f32_e32 v[6:7], v6
	v_cvt_f64_f32_e32 v[0:1], v0
	v_mul_f64 v[6:7], v[6:7], s[0:1]
	v_mul_f64 v[0:1], v[0:1], s[0:1]
	v_cvt_f32_f64_e32 v6, v[6:7]
	v_cvt_f32_f64_e32 v7, v[0:1]
	v_mad_u64_u32 v[0:1], s[4:5], s8, v8, v[4:5]
	v_add_u32_e32 v1, s2, v1
	global_store_dwordx2 v[0:1], v[6:7], off
	v_accvgpr_read_b32 v7, a1
	v_accvgpr_read_b32 v6, a0
	v_mul_f32_e32 v4, v7, v3
	v_fmac_f32_e32 v4, v6, v2
	v_mul_f32_e32 v2, v7, v2
	v_fma_f32 v2, v6, v3, -v2
	v_cvt_f64_f32_e32 v[4:5], v4
	v_cvt_f64_f32_e32 v[2:3], v2
	v_mul_f64 v[4:5], v[4:5], s[0:1]
	v_mul_f64 v[2:3], v[2:3], s[0:1]
	v_mad_u64_u32 v[0:1], s[0:1], s8, v8, v[0:1]
	v_cvt_f32_f64_e32 v4, v[4:5]
	v_cvt_f32_f64_e32 v5, v[2:3]
	v_add_u32_e32 v1, s2, v1
	global_store_dwordx2 v[0:1], v[4:5], off
.LBB0_24:
	s_endpgm
.LBB0_25:
	v_mov_b32_e32 v49, v71
	s_andn2_saveexec_b64 s[2:3], s[2:3]
	s_cbranch_execz .LBB0_21
.LBB0_26:
	v_add_u32_e32 v4, 0x400, v112
	v_add_u32_e32 v8, 0x800, v112
	;; [unrolled: 1-line block ×3, first 2 shown]
	ds_read2_b64 v[0:3], v112 offset1:52
	ds_read2_b64 v[52:55], v112 offset0:104 offset1:156
	ds_read2_b64 v[48:51], v4 offset0:80 offset1:132
	;; [unrolled: 1-line block ×6, first 2 shown]
	v_add_u32_e32 v56, 0x1400, v112
	ds_read2_b64 v[56:59], v56 offset0:88 offset1:140
	ds_read_b64 a[42:43], v112 offset:6656
	s_waitcnt lgkmcnt(6)
	v_mov_b32_e32 v64, v49
	v_mov_b32_e32 v65, v55
	v_mov_b32_e32 v49, v54
	s_waitcnt lgkmcnt(1)
	v_mov_b32_e32 v54, v59
	v_mov_b32_e32 v55, v56
	;; [unrolled: 1-line block ×3, first 2 shown]
	s_or_b64 exec, exec, s[2:3]
	s_and_saveexec_b64 s[2:3], s[0:1]
	s_cbranch_execnz .LBB0_22
	s_branch .LBB0_23
	.section	.rodata,"a",@progbits
	.p2align	6, 0x0
	.amdhsa_kernel bluestein_single_fwd_len884_dim1_sp_op_CI_CI
		.amdhsa_group_segment_fixed_size 21216
		.amdhsa_private_segment_fixed_size 0
		.amdhsa_kernarg_size 104
		.amdhsa_user_sgpr_count 2
		.amdhsa_user_sgpr_dispatch_ptr 0
		.amdhsa_user_sgpr_queue_ptr 0
		.amdhsa_user_sgpr_kernarg_segment_ptr 1
		.amdhsa_user_sgpr_dispatch_id 0
		.amdhsa_user_sgpr_kernarg_preload_length 0
		.amdhsa_user_sgpr_kernarg_preload_offset 0
		.amdhsa_user_sgpr_private_segment_size 0
		.amdhsa_uses_dynamic_stack 0
		.amdhsa_enable_private_segment 0
		.amdhsa_system_sgpr_workgroup_id_x 1
		.amdhsa_system_sgpr_workgroup_id_y 0
		.amdhsa_system_sgpr_workgroup_id_z 0
		.amdhsa_system_sgpr_workgroup_info 0
		.amdhsa_system_vgpr_workitem_id 0
		.amdhsa_next_free_vgpr 300
		.amdhsa_next_free_sgpr 70
		.amdhsa_accum_offset 256
		.amdhsa_reserve_vcc 1
		.amdhsa_float_round_mode_32 0
		.amdhsa_float_round_mode_16_64 0
		.amdhsa_float_denorm_mode_32 3
		.amdhsa_float_denorm_mode_16_64 3
		.amdhsa_dx10_clamp 1
		.amdhsa_ieee_mode 1
		.amdhsa_fp16_overflow 0
		.amdhsa_tg_split 0
		.amdhsa_exception_fp_ieee_invalid_op 0
		.amdhsa_exception_fp_denorm_src 0
		.amdhsa_exception_fp_ieee_div_zero 0
		.amdhsa_exception_fp_ieee_overflow 0
		.amdhsa_exception_fp_ieee_underflow 0
		.amdhsa_exception_fp_ieee_inexact 0
		.amdhsa_exception_int_div_zero 0
	.end_amdhsa_kernel
	.text
.Lfunc_end0:
	.size	bluestein_single_fwd_len884_dim1_sp_op_CI_CI, .Lfunc_end0-bluestein_single_fwd_len884_dim1_sp_op_CI_CI
                                        ; -- End function
	.section	.AMDGPU.csdata,"",@progbits
; Kernel info:
; codeLenInByte = 21128
; NumSgprs: 76
; NumVgprs: 256
; NumAgprs: 44
; TotalNumVgprs: 300
; ScratchSize: 0
; MemoryBound: 0
; FloatMode: 240
; IeeeMode: 1
; LDSByteSize: 21216 bytes/workgroup (compile time only)
; SGPRBlocks: 9
; VGPRBlocks: 37
; NumSGPRsForWavesPerEU: 76
; NumVGPRsForWavesPerEU: 300
; AccumOffset: 256
; Occupancy: 1
; WaveLimiterHint : 1
; COMPUTE_PGM_RSRC2:SCRATCH_EN: 0
; COMPUTE_PGM_RSRC2:USER_SGPR: 2
; COMPUTE_PGM_RSRC2:TRAP_HANDLER: 0
; COMPUTE_PGM_RSRC2:TGID_X_EN: 1
; COMPUTE_PGM_RSRC2:TGID_Y_EN: 0
; COMPUTE_PGM_RSRC2:TGID_Z_EN: 0
; COMPUTE_PGM_RSRC2:TIDIG_COMP_CNT: 0
; COMPUTE_PGM_RSRC3_GFX90A:ACCUM_OFFSET: 63
; COMPUTE_PGM_RSRC3_GFX90A:TG_SPLIT: 0
	.text
	.p2alignl 6, 3212836864
	.fill 256, 4, 3212836864
	.type	__hip_cuid_d8ef726812b1403a,@object ; @__hip_cuid_d8ef726812b1403a
	.section	.bss,"aw",@nobits
	.globl	__hip_cuid_d8ef726812b1403a
__hip_cuid_d8ef726812b1403a:
	.byte	0                               ; 0x0
	.size	__hip_cuid_d8ef726812b1403a, 1

	.ident	"AMD clang version 19.0.0git (https://github.com/RadeonOpenCompute/llvm-project roc-6.4.0 25133 c7fe45cf4b819c5991fe208aaa96edf142730f1d)"
	.section	".note.GNU-stack","",@progbits
	.addrsig
	.addrsig_sym __hip_cuid_d8ef726812b1403a
	.amdgpu_metadata
---
amdhsa.kernels:
  - .agpr_count:     44
    .args:
      - .actual_access:  read_only
        .address_space:  global
        .offset:         0
        .size:           8
        .value_kind:     global_buffer
      - .actual_access:  read_only
        .address_space:  global
        .offset:         8
        .size:           8
        .value_kind:     global_buffer
      - .actual_access:  read_only
        .address_space:  global
        .offset:         16
        .size:           8
        .value_kind:     global_buffer
      - .actual_access:  read_only
        .address_space:  global
        .offset:         24
        .size:           8
        .value_kind:     global_buffer
      - .actual_access:  read_only
        .address_space:  global
        .offset:         32
        .size:           8
        .value_kind:     global_buffer
      - .offset:         40
        .size:           8
        .value_kind:     by_value
      - .address_space:  global
        .offset:         48
        .size:           8
        .value_kind:     global_buffer
      - .address_space:  global
        .offset:         56
        .size:           8
        .value_kind:     global_buffer
      - .address_space:  global
        .offset:         64
        .size:           8
        .value_kind:     global_buffer
      - .address_space:  global
        .offset:         72
        .size:           8
        .value_kind:     global_buffer
      - .offset:         80
        .size:           4
        .value_kind:     by_value
      - .address_space:  global
        .offset:         88
        .size:           8
        .value_kind:     global_buffer
      - .address_space:  global
        .offset:         96
        .size:           8
        .value_kind:     global_buffer
    .group_segment_fixed_size: 21216
    .kernarg_segment_align: 8
    .kernarg_segment_size: 104
    .language:       OpenCL C
    .language_version:
      - 2
      - 0
    .max_flat_workgroup_size: 204
    .name:           bluestein_single_fwd_len884_dim1_sp_op_CI_CI
    .private_segment_fixed_size: 0
    .sgpr_count:     76
    .sgpr_spill_count: 0
    .symbol:         bluestein_single_fwd_len884_dim1_sp_op_CI_CI.kd
    .uniform_work_group_size: 1
    .uses_dynamic_stack: false
    .vgpr_count:     300
    .vgpr_spill_count: 0
    .wavefront_size: 64
amdhsa.target:   amdgcn-amd-amdhsa--gfx950
amdhsa.version:
  - 1
  - 2
...

	.end_amdgpu_metadata
